;; amdgpu-corpus repo=ROCm/rocFFT kind=compiled arch=gfx1201 opt=O3
	.text
	.amdgcn_target "amdgcn-amd-amdhsa--gfx1201"
	.amdhsa_code_object_version 6
	.protected	bluestein_single_fwd_len4000_dim1_sp_op_CI_CI ; -- Begin function bluestein_single_fwd_len4000_dim1_sp_op_CI_CI
	.globl	bluestein_single_fwd_len4000_dim1_sp_op_CI_CI
	.p2align	8
	.type	bluestein_single_fwd_len4000_dim1_sp_op_CI_CI,@function
bluestein_single_fwd_len4000_dim1_sp_op_CI_CI: ; @bluestein_single_fwd_len4000_dim1_sp_op_CI_CI
; %bb.0:
	s_load_b128 s[16:19], s[0:1], 0x28
	v_mul_u32_u24_e32 v1, 0x148, v0
	s_mov_b32 s2, exec_lo
	v_mov_b32_e32 v109, 0
	s_delay_alu instid0(VALU_DEP_2) | instskip(NEXT) | instid1(VALU_DEP_1)
	v_lshrrev_b32_e32 v1, 16, v1
	v_add_nc_u32_e32 v108, ttmp9, v1
	s_wait_kmcnt 0x0
	s_delay_alu instid0(VALU_DEP_1)
	v_cmpx_gt_u64_e64 s[16:17], v[108:109]
	s_cbranch_execz .LBB0_2
; %bb.1:
	s_clause 0x1
	s_load_b128 s[4:7], s[0:1], 0x18
	s_load_b128 s[8:11], s[0:1], 0x0
	v_mul_lo_u16 v1, 0xc8, v1
	s_load_b64 s[0:1], s[0:1], 0x38
	s_delay_alu instid0(VALU_DEP_1) | instskip(NEXT) | instid1(VALU_DEP_1)
	v_sub_nc_u16 v68, v0, v1
	v_and_b32_e32 v167, 0xffff, v68
	v_and_b32_e32 v44, 0xff, v68
	s_wait_kmcnt 0x0
	s_load_b128 s[12:15], s[4:5], 0x0
	s_wait_kmcnt 0x0
	v_mad_co_u64_u32 v[0:1], null, s14, v108, 0
	v_mad_co_u64_u32 v[2:3], null, s12, v167, 0
	s_mul_u64 s[2:3], s[12:13], 0xc80
	s_mul_i32 s4, s13, 0xffff95c0
	s_delay_alu instid0(SALU_CYCLE_1) | instskip(NEXT) | instid1(VALU_DEP_1)
	s_sub_co_i32 s4, s4, s12
	v_mad_co_u64_u32 v[4:5], null, s15, v108, v[1:2]
	s_delay_alu instid0(VALU_DEP_1) | instskip(NEXT) | instid1(VALU_DEP_3)
	v_dual_mov_b32 v1, v4 :: v_dual_lshlrev_b32 v168, 3, v167
	v_mad_co_u64_u32 v[5:6], null, s13, v167, v[3:4]
	s_clause 0x3
	global_load_b64 v[133:134], v168, s[8:9]
	global_load_b64 v[137:138], v168, s[8:9] offset:6400
	global_load_b64 v[139:140], v168, s[8:9] offset:12800
	;; [unrolled: 1-line block ×3, first 2 shown]
	v_lshlrev_b64_e32 v[0:1], 3, v[0:1]
	s_clause 0x5
	global_load_b64 v[135:136], v168, s[8:9] offset:19200
	global_load_b64 v[123:124], v168, s[8:9] offset:25600
	;; [unrolled: 1-line block ×6, first 2 shown]
	v_mov_b32_e32 v3, v5
	s_clause 0x1
	global_load_b64 v[145:146], v168, s[8:9] offset:9600
	global_load_b64 v[111:112], v168, s[8:9] offset:11200
	v_add_co_u32 v0, vcc_lo, s18, v0
	v_add_co_ci_u32_e32 v1, vcc_lo, s19, v1, vcc_lo
	v_lshlrev_b64_e32 v[2:3], 3, v[2:3]
	v_add_nc_u32_e32 v176, 0x2400, v168
	v_add_nc_u32_e32 v174, 0x5600, v168
	;; [unrolled: 1-line block ×5, first 2 shown]
	v_add_co_u32 v0, vcc_lo, v0, v2
	s_wait_alu 0xfffd
	v_add_co_ci_u32_e32 v1, vcc_lo, v1, v3, vcc_lo
	v_add_nc_u32_e32 v241, 0x600, v168
	s_delay_alu instid0(VALU_DEP_3) | instskip(SKIP_1) | instid1(VALU_DEP_3)
	v_add_co_u32 v2, vcc_lo, v0, s2
	s_wait_alu 0xfffd
	v_add_co_ci_u32_e32 v3, vcc_lo, s3, v1, vcc_lo
	global_load_b64 v[10:11], v[0:1], off
	v_add_co_u32 v4, vcc_lo, v2, s2
	global_load_b64 v[12:13], v[2:3], off
	s_wait_alu 0xfffd
	v_add_co_ci_u32_e32 v5, vcc_lo, s3, v3, vcc_lo
	v_add_co_u32 v6, vcc_lo, v4, s2
	v_add_nc_u32_e32 v245, 0x3800, v168
	s_wait_alu 0xfffd
	s_delay_alu instid0(VALU_DEP_3)
	v_add_co_ci_u32_e32 v7, vcc_lo, s3, v5, vcc_lo
	global_load_b64 v[4:5], v[4:5], off
	v_add_co_u32 v0, vcc_lo, v6, s2
	s_wait_alu 0xfffd
	v_add_co_ci_u32_e32 v1, vcc_lo, s3, v7, vcc_lo
	s_clause 0x1
	global_load_b64 v[6:7], v[6:7], off
	global_load_b64 v[8:9], v[0:1], off
	v_add_co_u32 v2, vcc_lo, v0, s2
	s_wait_alu 0xfffd
	v_add_co_ci_u32_e32 v3, vcc_lo, s3, v1, vcc_lo
	v_add_nc_u32_e32 v172, 0x1800, v168
	s_delay_alu instid0(VALU_DEP_3) | instskip(SKIP_1) | instid1(VALU_DEP_3)
	v_add_co_u32 v14, vcc_lo, v2, s2
	s_wait_alu 0xfffd
	v_add_co_ci_u32_e32 v15, vcc_lo, s3, v3, vcc_lo
	global_load_b64 v[0:1], v[2:3], off
	v_add_co_u32 v16, vcc_lo, v14, s2
	s_wait_alu 0xfffd
	v_add_co_ci_u32_e32 v17, vcc_lo, s3, v15, vcc_lo
	global_load_b64 v[2:3], v[14:15], off
	v_add_co_u32 v18, vcc_lo, v16, s2
	s_wait_alu 0xfffd
	v_add_co_ci_u32_e32 v19, vcc_lo, s3, v17, vcc_lo
	s_clause 0x2
	global_load_b64 v[119:120], v168, s[8:9] offset:8000
	global_load_b64 v[113:114], v168, s[8:9] offset:17600
	;; [unrolled: 1-line block ×3, first 2 shown]
	v_add_co_u32 v20, vcc_lo, v18, s2
	s_wait_alu 0xfffd
	v_add_co_ci_u32_e32 v21, vcc_lo, s3, v19, vcc_lo
	global_load_b64 v[14:15], v[16:17], off
	s_clause 0x1
	global_load_b64 v[143:144], v168, s[8:9] offset:22400
	global_load_b64 v[109:110], v168, s[8:9] offset:24000
	global_load_b64 v[30:31], v[18:19], off
	global_load_b64 v[125:126], v168, s[8:9] offset:20800
	v_mad_co_u64_u32 v[22:23], null, 0xffff95c0, s12, v[20:21]
	global_load_b64 v[34:35], v[20:21], off
	v_add_nc_u32_e32 v169, 0x6400, v168
	v_add_nc_u32_e32 v170, 0x4a00, v168
	;; [unrolled: 1-line block ×5, first 2 shown]
	v_add_co_u32 v16, vcc_lo, v22, s2
	s_wait_loadcnt 0xe
	v_mul_f32_e32 v42, v13, v148
	s_wait_alu 0xfffd
	v_add_co_ci_u32_e32 v17, vcc_lo, s3, v23, vcc_lo
	v_add_co_u32 v18, vcc_lo, v16, s2
	global_load_b64 v[32:33], v[22:23], off
	s_wait_alu 0xfffd
	v_add_co_ci_u32_e32 v19, vcc_lo, s3, v17, vcc_lo
	global_load_b64 v[28:29], v[16:17], off
	v_add_co_u32 v16, vcc_lo, v18, s2
	s_wait_alu 0xfffd
	v_add_co_ci_u32_e32 v17, vcc_lo, s3, v19, vcc_lo
	global_load_b64 v[22:23], v[18:19], off
	v_add_co_u32 v18, vcc_lo, v16, s2
	s_wait_alu 0xfffd
	v_add_co_ci_u32_e32 v19, vcc_lo, s3, v17, vcc_lo
	global_load_b64 v[24:25], v[16:17], off
	v_add_co_u32 v16, vcc_lo, v18, s2
	s_wait_alu 0xfffd
	v_add_co_ci_u32_e32 v17, vcc_lo, s3, v19, vcc_lo
	global_load_b64 v[26:27], v[18:19], off
	v_add_co_u32 v18, vcc_lo, v16, s2
	s_wait_alu 0xfffd
	v_add_co_ci_u32_e32 v19, vcc_lo, s3, v17, vcc_lo
	global_load_b64 v[16:17], v[16:17], off
	v_add_co_u32 v20, vcc_lo, v18, s2
	s_wait_alu 0xfffd
	v_add_co_ci_u32_e32 v21, vcc_lo, s3, v19, vcc_lo
	global_load_b64 v[18:19], v[18:19], off
	v_add_co_u32 v36, vcc_lo, v20, s2
	s_wait_alu 0xfffd
	v_add_co_ci_u32_e32 v37, vcc_lo, s3, v21, vcc_lo
	global_load_b64 v[20:21], v[20:21], off
	v_add_co_u32 v40, vcc_lo, v36, s2
	s_wait_alu 0xfffd
	v_add_co_ci_u32_e32 v41, vcc_lo, s3, v37, vcc_lo
	s_clause 0x1
	global_load_b64 v[127:128], v168, s[8:9] offset:30400
	global_load_b64 v[129:130], v168, s[8:9] offset:27200
	global_load_b64 v[38:39], v[36:37], off
	global_load_b64 v[36:37], v[40:41], off
	v_dual_mul_f32 v40, v11, v134 :: v_dual_add_nc_u32 v171, 0x3200, v168
	v_mul_f32_e32 v41, v10, v134
	v_mul_f32_e32 v43, v12, v148
	v_fmac_f32_e32 v42, v12, v147
	s_delay_alu instid0(VALU_DEP_4)
	v_fmac_f32_e32 v40, v10, v133
	s_wait_loadcnt 0x19
	v_mul_f32_e32 v10, v5, v138
	v_fma_f32 v41, v11, v133, -v41
	s_wait_loadcnt 0x17
	v_dual_mul_f32 v11, v4, v138 :: v_dual_mul_f32 v12, v9, v140
	s_load_b128 s[4:7], s[6:7], 0x0
	v_fmac_f32_e32 v10, v4, v137
	v_mul_f32_e32 v4, v7, v146
	v_fma_f32 v43, v13, v147, -v43
	v_mul_f32_e32 v13, v6, v146
	v_mul_f32_e32 v45, v8, v140
	v_fma_f32 v11, v5, v137, -v11
	v_fmac_f32_e32 v4, v6, v145
	s_wait_loadcnt 0x16
	v_mul_f32_e32 v6, v1, v142
	v_fma_f32 v5, v7, v145, -v13
	v_mul_f32_e32 v7, v0, v142
	v_fmac_f32_e32 v12, v8, v139
	v_fma_f32 v13, v9, v139, -v45
	s_wait_loadcnt 0x15
	v_mul_f32_e32 v8, v3, v136
	v_fmac_f32_e32 v6, v0, v141
	v_fma_f32 v7, v1, v141, -v7
	s_wait_loadcnt 0x10
	v_mul_f32_e32 v1, v14, v144
	ds_store_b64 v168, v[42:43] offset:3200
	ds_store_b64 v168, v[10:11] offset:6400
	;; [unrolled: 1-line block ×4, first 2 shown]
	v_mul_f32_e32 v4, v2, v136
	s_wait_loadcnt 0xc
	v_dual_mul_f32 v0, v15, v144 :: v_dual_mul_f32 v5, v34, v122
	v_fmac_f32_e32 v8, v2, v135
	v_mul_f32_e32 v2, v31, v124
	v_fma_f32 v1, v15, v143, -v1
	s_delay_alu instid0(VALU_DEP_4)
	v_fmac_f32_e32 v0, v14, v143
	v_fma_f32 v5, v35, v121, -v5
	v_cmp_gt_u16_e32 vcc_lo, 0x64, v68
	s_wait_loadcnt 0xb
	v_dual_fmac_f32 v2, v30, v123 :: v_dual_mul_f32 v11, v32, v118
	v_fma_f32 v9, v3, v135, -v4
	v_dual_mul_f32 v3, v30, v124 :: v_dual_mul_f32 v4, v35, v122
	v_mul_f32_e32 v10, v33, v118
	s_delay_alu instid0(VALU_DEP_4) | instskip(NEXT) | instid1(VALU_DEP_3)
	v_fma_f32 v11, v33, v117, -v11
	v_fma_f32 v3, v31, v123, -v3
	ds_store_b64 v168, v[6:7] offset:16000
	ds_store_b64 v168, v[8:9] offset:19200
	;; [unrolled: 1-line block ×4, first 2 shown]
	s_wait_loadcnt 0xa
	v_mul_f32_e32 v0, v29, v116
	v_mul_f32_e32 v1, v28, v116
	s_wait_loadcnt 0x9
	v_mul_f32_e32 v2, v23, v120
	v_dual_mul_f32 v3, v22, v120 :: v_dual_fmac_f32 v10, v32, v117
	v_fmac_f32_e32 v0, v28, v115
	v_fma_f32 v1, v29, v115, -v1
	s_delay_alu instid0(VALU_DEP_4)
	v_fmac_f32_e32 v2, v22, v119
	s_wait_loadcnt 0x7
	v_mul_f32_e32 v7, v26, v132
	v_fmac_f32_e32 v4, v34, v121
	v_mul_f32_e32 v6, v27, v132
	v_fma_f32 v3, v23, v119, -v3
	s_delay_alu instid0(VALU_DEP_4)
	v_fma_f32 v7, v27, v131, -v7
	ds_store_b64 v168, v[4:5] offset:28800
	v_mul_f32_e32 v4, v25, v112
	v_dual_mul_f32 v5, v24, v112 :: v_dual_fmac_f32 v6, v26, v131
	ds_store_2addr_b64 v168, v[40:41], v[10:11] offset1:200
	s_wait_loadcnt 0x6
	v_mul_f32_e32 v8, v17, v114
	v_fmac_f32_e32 v4, v24, v111
	v_fma_f32 v5, v25, v111, -v5
	v_mul_f32_e32 v9, v16, v114
	ds_store_b64 v168, v[0:1] offset:4800
	ds_store_b64 v168, v[2:3] offset:8000
	;; [unrolled: 1-line block ×4, first 2 shown]
	s_wait_loadcnt 0x4
	v_mul_f32_e32 v3, v20, v110
	v_mul_f32_e32 v0, v19, v126
	;; [unrolled: 1-line block ×4, first 2 shown]
	s_wait_loadcnt 0x1
	v_mul_f32_e32 v4, v39, v130
	s_wait_loadcnt 0x0
	v_dual_mul_f32 v5, v38, v130 :: v_dual_mul_f32 v6, v37, v128
	v_mul_f32_e32 v7, v36, v128
	v_fmac_f32_e32 v8, v16, v113
	v_fma_f32 v9, v17, v113, -v9
	v_fma_f32 v3, v21, v109, -v3
	v_mul_lo_u16 v21, v68, 10
	v_fmac_f32_e32 v0, v18, v125
	v_fma_f32 v1, v19, v125, -v1
	v_fmac_f32_e32 v2, v20, v109
	v_fmac_f32_e32 v4, v38, v129
	v_fma_f32 v5, v39, v129, -v5
	v_fmac_f32_e32 v6, v36, v127
	v_fma_f32 v7, v37, v127, -v7
	ds_store_b64 v168, v[8:9] offset:17600
	ds_store_b64 v168, v[0:1] offset:20800
	;; [unrolled: 1-line block ×5, first 2 shown]
	global_wb scope:SCOPE_SE
	s_wait_dscnt 0x0
	s_wait_kmcnt 0x0
	s_barrier_signal -1
	s_barrier_wait -1
	global_inv scope:SCOPE_SE
	ds_load_2addr_b64 v[0:3], v168 offset1:200
	ds_load_2addr_b64 v[5:8], v172 offset0:32 offset1:232
	ds_load_2addr_b64 v[9:12], v171 offset1:200
	ds_load_2addr_b64 v[13:16], v170 offset0:32 offset1:232
	ds_load_2addr_b64 v[17:20], v169 offset1:200
	v_mul_lo_u16 v4, 0xcd, v44
	v_and_b32_e32 v33, 0xffff, v21
	ds_load_2addr_b64 v[21:24], v177 offset0:16 offset1:216
	ds_load_2addr_b64 v[25:28], v176 offset0:48 offset1:248
	;; [unrolled: 1-line block ×5, first 2 shown]
	v_add_co_u32 v36, null, 0xc8, v167
	global_wb scope:SCOPE_SE
	s_wait_dscnt 0x0
	v_lshlrev_b32_e32 v178, 3, v33
	s_barrier_signal -1
	s_barrier_wait -1
	global_inv scope:SCOPE_SE
	v_add_f32_e32 v34, v0, v5
	v_sub_f32_e32 v47, v5, v9
	v_add_f32_e32 v35, v9, v13
	v_dual_add_f32 v69, v22, v26 :: v_dual_sub_f32 v48, v17, v13
	v_dual_sub_f32 v50, v9, v5 :: v_dual_sub_f32 v75, v38, v42
	v_sub_f32_e32 v51, v13, v17
	v_add_f32_e32 v59, v21, v25
	v_dual_add_f32 v60, v29, v37 :: v_dual_sub_f32 v91, v16, v20
	v_add_f32_e32 v65, v25, v41
	v_dual_add_f32 v52, v1, v6 :: v_dual_add_f32 v85, v3, v8
	v_dual_add_f32 v53, v10, v14 :: v_dual_sub_f32 v54, v9, v13
	v_dual_sub_f32 v56, v18, v14 :: v_dual_sub_f32 v71, v29, v37
	v_add_f32_e32 v57, v6, v18
	v_dual_sub_f32 v62, v30, v38 :: v_dual_add_f32 v93, v31, v39
	v_sub_f32_e32 v63, v25, v29
	v_dual_sub_f32 v66, v29, v25 :: v_dual_sub_f32 v97, v43, v39
	v_dual_add_f32 v70, v30, v38 :: v_dual_sub_f32 v99, v31, v27
	v_sub_f32_e32 v73, v42, v38
	v_add_f32_e32 v74, v26, v42
	v_dual_add_f32 v76, v2, v7 :: v_dual_sub_f32 v105, v44, v40
	v_dual_sub_f32 v78, v8, v20 :: v_dual_add_f32 v9, v34, v9
	v_add_f32_e32 v86, v12, v16
	v_dual_sub_f32 v88, v8, v12 :: v_dual_add_f32 v29, v59, v29
	v_fma_f32 v34, -0.5, v35, v0
	v_add_f32_e32 v35, v47, v48
	v_add_f32_e32 v47, v50, v51
	v_fma_f32 v50, -0.5, v60, v21
	v_fma_f32 v21, -0.5, v65, v21
	v_sub_f32_e32 v45, v6, v18
	v_dual_sub_f32 v46, v10, v14 :: v_dual_sub_f32 v25, v25, v41
	v_add_f32_e32 v49, v5, v17
	v_sub_f32_e32 v55, v6, v10
	v_dual_sub_f32 v6, v10, v6 :: v_dual_sub_f32 v87, v11, v15
	v_dual_sub_f32 v58, v14, v18 :: v_dual_sub_f32 v89, v20, v16
	;; [unrolled: 1-line block ×3, first 2 shown]
	v_sub_f32_e32 v95, v32, v40
	v_dual_sub_f32 v67, v37, v41 :: v_dual_sub_f32 v72, v26, v30
	v_dual_add_f32 v101, v24, v28 :: v_dual_sub_f32 v26, v30, v26
	v_sub_f32_e32 v103, v31, v39
	v_add_f32_e32 v77, v11, v15
	v_dual_sub_f32 v80, v7, v11 :: v_dual_sub_f32 v107, v40, v44
	v_sub_f32_e32 v81, v19, v15
	v_add_f32_e32 v82, v7, v19
	v_sub_f32_e32 v83, v11, v7
	v_sub_f32_e32 v84, v15, v19
	v_dual_sub_f32 v7, v7, v19 :: v_dual_add_f32 v90, v8, v20
	v_dual_add_f32 v9, v9, v13 :: v_dual_sub_f32 v100, v39, v43
	v_dual_add_f32 v13, v29, v37 :: v_dual_add_f32 v102, v32, v40
	v_dual_fmamk_f32 v29, v61, 0x3f737871, v50 :: v_dual_sub_f32 v104, v28, v32
	v_dual_fmamk_f32 v37, v62, 0xbf737871, v21 :: v_dual_add_f32 v92, v23, v27
	v_add_f32_e32 v10, v52, v10
	v_fma_f32 v48, -0.5, v53, v1
	v_fma_f32 v1, -0.5, v57, v1
	v_sub_f32_e32 v96, v27, v31
	v_add_f32_e32 v98, v27, v43
	v_dual_sub_f32 v27, v27, v43 :: v_dual_add_f32 v30, v69, v30
	v_add_f32_e32 v11, v76, v11
	v_fma_f32 v53, -0.5, v70, v22
	v_fma_f32 v22, -0.5, v74, v22
	v_sub_f32_e32 v5, v5, v17
	v_sub_f32_e32 v79, v12, v16
	;; [unrolled: 1-line block ×3, first 2 shown]
	v_dual_add_f32 v106, v28, v44 :: v_dual_fmac_f32 v21, 0x3f737871, v62
	v_fma_f32 v0, -0.5, v49, v0
	v_dual_add_f32 v49, v55, v56 :: v_dual_add_f32 v6, v6, v58
	v_dual_add_f32 v51, v63, v64 :: v_dual_add_f32 v52, v66, v67
	v_add_f32_e32 v55, v72, v73
	v_dual_add_f32 v57, v80, v81 :: v_dual_add_f32 v12, v85, v12
	v_add_f32_e32 v11, v11, v15
	v_fma_f32 v59, -0.5, v86, v3
	v_fmac_f32_e32 v3, -0.5, v90
	v_fma_f32 v66, -0.5, v102, v24
	v_dual_add_f32 v67, v104, v105 :: v_dual_add_f32 v58, v83, v84
	v_dual_add_f32 v31, v92, v31 :: v_dual_add_f32 v10, v10, v14
	v_fmamk_f32 v73, v54, 0x3f737871, v1
	v_add_f32_e32 v14, v30, v38
	v_dual_fmamk_f32 v38, v71, 0x3f737871, v22 :: v_dual_add_f32 v13, v13, v41
	v_dual_sub_f32 v94, v28, v44 :: v_dual_fmamk_f32 v69, v45, 0x3f737871, v34
	v_sub_f32_e32 v28, v32, v28
	v_dual_add_f32 v26, v26, v75 :: v_dual_add_f32 v65, v99, v100
	v_fma_f32 v56, -0.5, v77, v2
	v_fma_f32 v2, -0.5, v82, v2
	v_dual_add_f32 v8, v8, v91 :: v_dual_fmamk_f32 v77, v87, 0x3f737871, v3
	v_fma_f32 v63, -0.5, v93, v23
	v_add_f32_e32 v64, v96, v97
	v_dual_add_f32 v32, v101, v32 :: v_dual_fmac_f32 v3, 0xbf737871, v87
	v_dual_fmac_f32 v24, -0.5, v106 :: v_dual_add_f32 v15, v31, v39
	v_dual_fmamk_f32 v70, v46, 0xbf737871, v0 :: v_dual_add_f32 v9, v9, v17
	v_dual_fmamk_f32 v72, v5, 0xbf737871, v48 :: v_dual_add_f32 v17, v11, v19
	v_fmac_f32_e32 v1, 0xbf737871, v54
	v_fma_f32 v23, -0.5, v98, v23
	v_fmac_f32_e32 v0, 0x3f737871, v46
	v_dual_add_f32 v12, v12, v16 :: v_dual_fmac_f32 v69, 0x3f167918, v46
	v_fmamk_f32 v76, v7, 0xbf737871, v59
	v_fmac_f32_e32 v59, 0x3f737871, v7
	v_fmac_f32_e32 v38, 0xbf167918, v25
	v_dual_add_f32 v60, v88, v89 :: v_dual_fmamk_f32 v75, v79, 0xbf737871, v2
	v_dual_fmac_f32 v34, 0xbf737871, v45 :: v_dual_fmamk_f32 v31, v95, 0xbf737871, v23
	v_dual_fmac_f32 v48, 0x3f737871, v5 :: v_dual_fmac_f32 v23, 0x3f737871, v95
	v_fmamk_f32 v39, v27, 0xbf737871, v66
	v_dual_fmac_f32 v0, 0xbf167918, v45 :: v_dual_fmac_f32 v77, 0xbf167918, v7
	v_dual_add_f32 v10, v10, v18 :: v_dual_fmac_f32 v37, 0x3f167918, v61
	v_dual_fmac_f32 v73, 0xbf167918, v5 :: v_dual_add_f32 v14, v14, v42
	v_dual_fmac_f32 v59, 0x3f167918, v87 :: v_dual_add_f32 v18, v12, v20
	v_fmac_f32_e32 v3, 0x3f167918, v7
	v_dual_add_f32 v7, v15, v43 :: v_dual_fmac_f32 v38, 0x3e9e377a, v26
	s_delay_alu instid0(VALU_DEP_3)
	v_fmac_f32_e32 v59, 0x3e9e377a, v60
	v_fmac_f32_e32 v22, 0xbf737871, v71
	v_dual_fmamk_f32 v74, v78, 0x3f737871, v56 :: v_dual_sub_f32 v11, v9, v13
	v_fmac_f32_e32 v56, 0xbf737871, v78
	v_fmac_f32_e32 v2, 0x3f737871, v79
	v_dual_add_f32 v32, v32, v40 :: v_dual_fmac_f32 v1, 0x3f167918, v5
	v_fmac_f32_e32 v50, 0xbf737871, v61
	v_dual_fmac_f32 v70, 0x3f167918, v45 :: v_dual_fmac_f32 v29, 0x3f167918, v62
	v_dual_fmac_f32 v0, 0x3e9e377a, v47 :: v_dual_fmac_f32 v37, 0x3e9e377a, v52
	v_add_f32_e32 v5, v9, v13
	v_add_f32_e32 v13, v17, v7
	v_sub_f32_e32 v19, v17, v7
	v_mul_f32_e32 v17, 0x3f737871, v38
	v_dual_add_f32 v15, v32, v44 :: v_dual_fmac_f32 v50, 0xbf167918, v62
	v_fmac_f32_e32 v39, 0xbf167918, v103
	v_dual_fmac_f32 v70, 0x3e9e377a, v47 :: v_dual_fmac_f32 v1, 0x3e9e377a, v6
	s_delay_alu instid0(VALU_DEP_4)
	v_fmac_f32_e32 v17, 0x3e9e377a, v37
	v_fmamk_f32 v30, v25, 0xbf737871, v53
	v_fmac_f32_e32 v53, 0x3f737871, v25
	v_dual_fmac_f32 v34, 0xbf167918, v46 :: v_dual_fmac_f32 v21, 0xbf167918, v61
	v_fmac_f32_e32 v48, 0x3f167918, v54
	v_dual_fmac_f32 v22, 0x3f167918, v25 :: v_dual_fmac_f32 v75, 0x3f167918, v78
	s_delay_alu instid0(VALU_DEP_4) | instskip(NEXT) | instid1(VALU_DEP_4)
	v_fmac_f32_e32 v53, 0x3f167918, v71
	v_dual_fmac_f32 v50, 0x3e9e377a, v51 :: v_dual_fmac_f32 v21, 0x3e9e377a, v52
	s_delay_alu instid0(VALU_DEP_3) | instskip(SKIP_1) | instid1(VALU_DEP_4)
	v_fmac_f32_e32 v22, 0x3e9e377a, v26
	v_add_f32_e32 v28, v28, v107
	v_fmac_f32_e32 v53, 0x3e9e377a, v55
	s_delay_alu instid0(VALU_DEP_4)
	v_mul_f32_e32 v26, 0xbf4f1bbd, v50
	v_fmamk_f32 v16, v94, 0x3f737871, v63
	v_fmac_f32_e32 v63, 0xbf737871, v94
	v_dual_fmac_f32 v74, 0x3f167918, v79 :: v_dual_fmac_f32 v31, 0x3f167918, v94
	v_dual_fmac_f32 v34, 0x3e9e377a, v35 :: v_dual_fmac_f32 v73, 0x3e9e377a, v6
	v_dual_sub_f32 v12, v10, v14 :: v_dual_fmac_f32 v3, 0x3e9e377a, v8
	v_mul_f32_e32 v41, 0xbf4f1bbd, v53
	v_fmac_f32_e32 v26, 0x3f167918, v53
	v_fmac_f32_e32 v76, 0xbf167918, v87
	v_dual_fmac_f32 v72, 0xbf167918, v54 :: v_dual_fmac_f32 v63, 0xbf167918, v95
	v_fmac_f32_e32 v69, 0x3e9e377a, v35
	v_dual_fmac_f32 v31, 0x3e9e377a, v65 :: v_dual_sub_f32 v20, v18, v15
	v_mul_f32_e32 v35, 0xbe9e377a, v22
	v_dual_add_f32 v9, v34, v26 :: v_dual_fmac_f32 v76, 0x3e9e377a, v60
	v_dual_fmac_f32 v48, 0x3e9e377a, v49 :: v_dual_fmac_f32 v29, 0x3e9e377a, v51
	v_dual_add_f32 v6, v10, v14 :: v_dual_fmac_f32 v77, 0x3e9e377a, v8
	v_add_f32_e32 v14, v18, v15
	v_mul_f32_e32 v18, 0xbe9e377a, v21
	v_dual_mul_f32 v52, 0xbf737871, v31 :: v_dual_fmac_f32 v35, 0xbf737871, v21
	v_dual_add_f32 v21, v70, v17 :: v_dual_fmac_f32 v30, 0xbf167918, v71
	v_dual_fmac_f32 v23, 0xbf167918, v94 :: v_dual_fmac_f32 v56, 0xbf167918, v79
	v_fmac_f32_e32 v41, 0xbf167918, v50
	v_mul_f32_e32 v15, 0x3f4f1bbd, v29
	s_delay_alu instid0(VALU_DEP_4) | instskip(SKIP_3) | instid1(VALU_DEP_4)
	v_dual_fmac_f32 v30, 0x3e9e377a, v55 :: v_dual_fmac_f32 v75, 0x3e9e377a, v58
	v_fmac_f32_e32 v72, 0x3e9e377a, v49
	v_dual_fmac_f32 v56, 0x3e9e377a, v57 :: v_dual_fmac_f32 v39, 0x3e9e377a, v67
	v_fmac_f32_e32 v23, 0x3e9e377a, v65
	v_fmac_f32_e32 v15, 0x3f167918, v30
	v_fmamk_f32 v40, v103, 0x3f737871, v24
	v_dual_fmac_f32 v74, 0x3e9e377a, v57 :: v_dual_fmac_f32 v63, 0x3e9e377a, v64
	s_delay_alu instid0(VALU_DEP_4) | instskip(NEXT) | instid1(VALU_DEP_4)
	v_mul_f32_e32 v47, 0xbe9e377a, v23
	v_dual_fmac_f32 v18, 0x3f737871, v22 :: v_dual_add_f32 v7, v69, v15
	s_delay_alu instid0(VALU_DEP_4) | instskip(SKIP_2) | instid1(VALU_DEP_3)
	v_fmac_f32_e32 v40, 0xbf167918, v27
	v_fmac_f32_e32 v24, 0xbf737871, v103
	v_dual_mul_f32 v49, 0xbf4f1bbd, v63 :: v_dual_add_f32 v10, v48, v41
	v_fmac_f32_e32 v40, 0x3e9e377a, v28
	s_delay_alu instid0(VALU_DEP_3) | instskip(NEXT) | instid1(VALU_DEP_2)
	v_fmac_f32_e32 v24, 0x3f167918, v27
	v_mul_f32_e32 v45, 0x3f737871, v40
	s_delay_alu instid0(VALU_DEP_1) | instskip(NEXT) | instid1(VALU_DEP_3)
	v_fmac_f32_e32 v45, 0x3e9e377a, v31
	v_dual_sub_f32 v31, v34, v26 :: v_dual_fmac_f32 v24, 0x3e9e377a, v28
	v_fmac_f32_e32 v66, 0x3f737871, v27
	v_fmac_f32_e32 v52, 0x3e9e377a, v40
	v_mul_f32_e32 v32, 0xbf737871, v37
	s_delay_alu instid0(VALU_DEP_4) | instskip(SKIP_2) | instid1(VALU_DEP_4)
	v_dual_add_f32 v40, v75, v45 :: v_dual_fmac_f32 v47, 0x3f737871, v24
	v_sub_f32_e32 v46, v75, v45
	v_lshrrev_b16 v37, 11, v4
	v_fmac_f32_e32 v32, 0x3e9e377a, v38
	v_dual_fmac_f32 v66, 0x3f167918, v103 :: v_dual_sub_f32 v27, v70, v17
	v_mul_u32_u24_e32 v4, 10, v36
	v_and_b32_e32 v34, 0xffff, v36
	s_delay_alu instid0(VALU_DEP_4) | instskip(NEXT) | instid1(VALU_DEP_4)
	v_add_f32_e32 v22, v73, v32
	v_fmac_f32_e32 v66, 0x3e9e377a, v67
	s_delay_alu instid0(VALU_DEP_4) | instskip(SKIP_2) | instid1(VALU_DEP_4)
	v_dual_fmac_f32 v16, 0x3f167918, v95 :: v_dual_lshlrev_b32 v179, 3, v4
	v_mul_lo_u16 v33, v37, 10
	v_and_b32_e32 v37, 0xffff, v37
	v_fmac_f32_e32 v49, 0x3f167918, v66
	s_delay_alu instid0(VALU_DEP_4)
	v_fmac_f32_e32 v16, 0x3e9e377a, v64
	v_mul_f32_e32 v55, 0xbf4f1bbd, v66
	v_fmac_f32_e32 v2, 0xbf167918, v78
	v_sub_nc_u16 v4, v68, v33
	v_add_f32_e32 v17, v56, v49
	v_mul_f32_e32 v51, 0xbf167918, v16
	v_fmac_f32_e32 v55, 0xbf167918, v63
	v_mul_f32_e32 v44, 0x3f4f1bbd, v16
	v_and_b32_e32 v38, 0xff, v4
	v_mul_u32_u24_e32 v37, 0x64, v37
	v_fmac_f32_e32 v51, 0x3f4f1bbd, v39
	v_mul_f32_e32 v54, 0xbe9e377a, v24
	v_fmac_f32_e32 v44, 0x3f167918, v39
	v_mul_f32_e32 v28, 0xbf167918, v29
	v_dual_fmac_f32 v2, 0x3e9e377a, v58 :: v_dual_sub_f32 v25, v69, v15
	v_sub_f32_e32 v45, v76, v51
	s_delay_alu instid0(VALU_DEP_4) | instskip(NEXT) | instid1(VALU_DEP_4)
	v_dual_fmac_f32 v54, 0xbf737871, v23 :: v_dual_add_f32 v15, v74, v44
	v_fmac_f32_e32 v28, 0x3f4f1bbd, v30
	v_add_f32_e32 v24, v1, v35
	s_delay_alu instid0(VALU_DEP_3) | instskip(SKIP_1) | instid1(VALU_DEP_4)
	v_dual_sub_f32 v30, v1, v35 :: v_dual_add_f32 v43, v3, v54
	v_sub_f32_e32 v1, v3, v54
	v_dual_sub_f32 v3, v59, v55 :: v_dual_add_f32 v8, v72, v28
	v_add_f32_e32 v23, v0, v18
	ds_store_b128 v178, v[5:8]
	ds_store_b128 v178, v[21:24] offset:16
	v_mul_u32_u24_e32 v5, 0xcccd, v34
	v_add_f32_e32 v16, v76, v51
	v_sub_f32_e32 v26, v72, v28
	v_sub_f32_e32 v28, v73, v32
	;; [unrolled: 1-line block ×3, first 2 shown]
	v_lshrrev_b32_e32 v39, 19, v5
	v_dual_add_f32 v42, v2, v47 :: v_dual_add_f32 v41, v77, v52
	v_dual_sub_f32 v29, v0, v18 :: v_dual_add_f32 v18, v59, v55
	s_delay_alu instid0(VALU_DEP_3)
	v_mul_lo_u16 v6, v39, 10
	ds_store_b128 v178, v[9:12] offset:32
	ds_store_b128 v178, v[25:28] offset:48
	;; [unrolled: 1-line block ×3, first 2 shown]
	ds_store_b128 v179, v[13:16]
	ds_store_b128 v179, v[40:43] offset:16
	v_sub_f32_e32 v44, v74, v44
	v_sub_f32_e32 v0, v2, v47
	v_sub_nc_u16 v40, v36, v6
	v_dual_sub_f32 v47, v77, v52 :: v_dual_sub_f32 v2, v56, v49
	ds_store_b128 v179, v[17:20] offset:32
	ds_store_b128 v179, v[44:47] offset:48
	;; [unrolled: 1-line block ×3, first 2 shown]
	v_mul_lo_u16 v0, 0x48, v40
	v_mad_co_u64_u32 v[4:5], null, 0x48, v38, s[10:11]
	global_wb scope:SCOPE_SE
	s_wait_dscnt 0x0
	s_barrier_signal -1
	v_and_b32_e32 v0, 0xffff, v0
	s_barrier_wait -1
	global_inv scope:SCOPE_SE
	v_mad_u16 v39, 0x64, v39, v40
	s_clause 0x3
	global_load_b128 v[28:31], v[4:5], off
	global_load_b128 v[24:27], v[4:5], off offset:16
	global_load_b128 v[20:23], v[4:5], off offset:32
	;; [unrolled: 1-line block ×3, first 2 shown]
	v_add_co_u32 v32, s2, s10, v0
	s_wait_alu 0xf1ff
	v_add_co_ci_u32_e64 v33, null, s11, 0, s2
	s_clause 0x5
	global_load_b64 v[151:152], v[4:5], off offset:64
	global_load_b128 v[12:15], v[32:33], off
	global_load_b128 v[8:11], v[32:33], off offset:16
	global_load_b128 v[4:7], v[32:33], off offset:32
	;; [unrolled: 1-line block ×3, first 2 shown]
	global_load_b64 v[149:150], v[32:33], off offset:64
	ds_load_2addr_b64 v[63:66], v177 offset0:16 offset1:216
	ds_load_2addr_b64 v[69:72], v172 offset0:32 offset1:232
	ds_load_2addr_b64 v[73:76], v176 offset0:48 offset1:248
	ds_load_2addr_b64 v[77:80], v171 offset1:200
	ds_load_2addr_b64 v[81:84], v175 offset0:16 offset1:216
	ds_load_2addr_b64 v[85:88], v170 offset0:32 offset1:232
	;; [unrolled: 1-line block ×3, first 2 shown]
	ds_load_2addr_b64 v[93:96], v169 offset1:200
	ds_load_2addr_b64 v[97:100], v173 offset0:16 offset1:216
	ds_load_2addr_b64 v[32:35], v168 offset1:200
	global_wb scope:SCOPE_SE
	s_wait_loadcnt_dscnt 0x0
	s_barrier_signal -1
	s_barrier_wait -1
	global_inv scope:SCOPE_SE
	v_dual_mul_f32 v101, v69, v31 :: v_dual_mul_f32 v42, v64, v29
	v_mul_f32_e32 v51, v93, v19
	v_dual_mul_f32 v47, v63, v29 :: v_dual_mul_f32 v54, v70, v31
	v_mul_f32_e32 v57, v78, v27
	v_mul_f32_e32 v59, v81, v21
	v_dual_mul_f32 v102, v73, v25 :: v_dual_mul_f32 v61, v86, v23
	v_mul_f32_e32 v55, v85, v23
	v_dual_mul_f32 v62, v77, v27 :: v_dual_mul_f32 v103, v90, v17
	v_dual_mul_f32 v52, v89, v17 :: v_dual_fmac_f32 v51, v94, v18
	v_mul_f32_e32 v105, v98, v152
	v_mul_f32_e32 v49, v97, v152
	v_dual_mul_f32 v153, v71, v15 :: v_dual_mul_f32 v56, v74, v25
	v_mul_f32_e32 v45, v83, v5
	v_dual_mul_f32 v58, v82, v21 :: v_dual_mul_f32 v53, v87, v7
	v_mul_f32_e32 v104, v94, v19
	v_fmac_f32_e32 v101, v70, v30
	v_mul_f32_e32 v41, v65, v13
	v_mul_f32_e32 v107, v72, v15
	v_fmac_f32_e32 v53, v88, v6
	v_dual_mul_f32 v154, v76, v9 :: v_dual_fmac_f32 v49, v98, v151
	s_delay_alu instid0(VALU_DEP_4)
	v_dual_mul_f32 v46, v75, v9 :: v_dual_fmac_f32 v41, v66, v12
	v_mul_f32_e32 v155, v80, v11
	v_mul_f32_e32 v157, v88, v7
	;; [unrolled: 1-line block ×5, first 2 shown]
	v_fma_f32 v48, v63, v28, -v42
	v_fmac_f32_e32 v47, v64, v28
	v_fma_f32 v161, v69, v30, -v54
	v_fmac_f32_e32 v43, v100, v149
	v_fmac_f32_e32 v59, v82, v20
	v_fma_f32 v67, v85, v22, -v61
	v_fmac_f32_e32 v55, v86, v22
	v_fmac_f32_e32 v62, v78, v26
	v_fma_f32 v63, v89, v16, -v103
	v_dual_add_f32 v89, v101, v51 :: v_dual_mul_f32 v158, v92, v1
	v_fmac_f32_e32 v102, v74, v24
	v_fma_f32 v74, v77, v26, -v57
	v_mul_f32_e32 v156, v84, v5
	v_mul_f32_e32 v50, v95, v3
	v_dual_fmac_f32 v52, v90, v16 :: v_dual_fmac_f32 v153, v72, v14
	v_fma_f32 v162, v73, v24, -v56
	v_fma_f32 v56, v97, v151, -v105
	v_fmac_f32_e32 v45, v84, v4
	v_fma_f32 v70, v81, v20, -v58
	v_fma_f32 v58, v93, v18, -v104
	v_mul_f32_e32 v106, v66, v13
	v_mul_f32_e32 v44, v91, v1
	v_dual_mul_f32 v160, v100, v150 :: v_dual_add_f32 v85, v33, v101
	v_fma_f32 v77, v71, v14, -v107
	v_dual_fmac_f32 v46, v76, v8 :: v_dual_add_f32 v93, v70, v63
	v_fma_f32 v73, v79, v10, -v155
	v_fma_f32 v66, v87, v6, -v157
	v_fma_f32 v57, v95, v2, -v159
	v_dual_add_f32 v76, v32, v161 :: v_dual_add_f32 v79, v74, v67
	v_fma_f32 v69, v83, v4, -v156
	v_dual_sub_f32 v81, v58, v67 :: v_dual_fmac_f32 v44, v92, v0
	v_sub_f32_e32 v95, v162, v70
	v_dual_sub_f32 v83, v74, v161 :: v_dual_fmac_f32 v50, v96, v2
	v_add_f32_e32 v97, v162, v56
	v_sub_f32_e32 v71, v161, v58
	v_fma_f32 v42, v65, v12, -v106
	v_sub_f32_e32 v65, v62, v55
	v_fma_f32 v61, v91, v0, -v158
	v_sub_f32_e32 v87, v101, v62
	v_fmac_f32_e32 v60, v80, v10
	v_dual_sub_f32 v80, v161, v74 :: v_dual_sub_f32 v103, v162, v56
	v_dual_add_f32 v82, v161, v58 :: v_dual_sub_f32 v105, v102, v59
	v_dual_sub_f32 v84, v67, v58 :: v_dual_add_f32 v107, v102, v49
	v_dual_sub_f32 v88, v51, v55 :: v_dual_add_f32 v155, v34, v77
	v_dual_sub_f32 v90, v62, v101 :: v_dual_sub_f32 v183, v53, v50
	v_sub_f32_e32 v91, v55, v51
	v_dual_sub_f32 v64, v101, v51 :: v_dual_add_f32 v101, v59, v52
	v_fma_f32 v78, v75, v8, -v154
	v_fma_f32 v54, v99, v149, -v160
	v_dual_add_f32 v86, v62, v55 :: v_dual_sub_f32 v157, v153, v50
	v_dual_sub_f32 v72, v74, v67 :: v_dual_sub_f32 v159, v77, v73
	v_dual_add_f32 v92, v48, v162 :: v_dual_add_f32 v161, v77, v57
	v_sub_f32_e32 v75, v102, v49
	v_dual_sub_f32 v98, v70, v162 :: v_dual_add_f32 v165, v60, v53
	v_sub_f32_e32 v99, v63, v56
	v_dual_add_f32 v100, v47, v102 :: v_dual_sub_f32 v181, v50, v53
	v_dual_sub_f32 v102, v59, v102 :: v_dual_add_f32 v185, v69, v61
	v_dual_sub_f32 v154, v52, v49 :: v_dual_sub_f32 v187, v45, v44
	v_sub_f32_e32 v160, v57, v66
	v_add_f32_e32 v182, v153, v50
	v_add_f32_e32 v194, v45, v44
	;; [unrolled: 1-line block ×3, first 2 shown]
	v_fma_f32 v76, -0.5, v79, v32
	v_add_f32_e32 v79, v80, v81
	v_fma_f32 v80, -0.5, v82, v32
	v_add_f32_e32 v82, v87, v88
	v_fma_f32 v87, -0.5, v101, v47
	v_fmac_f32_e32 v47, -0.5, v107
	v_add_f32_e32 v196, v46, v43
	v_dual_sub_f32 v94, v59, v52 :: v_dual_sub_f32 v163, v66, v57
	v_sub_f32_e32 v96, v56, v63
	v_sub_f32_e32 v104, v70, v63
	v_dual_sub_f32 v106, v49, v52 :: v_dual_sub_f32 v189, v54, v61
	v_dual_add_f32 v156, v73, v66 :: v_dual_sub_f32 v197, v46, v45
	v_sub_f32_e32 v162, v73, v77
	v_dual_add_f32 v164, v35, v153 :: v_dual_add_f32 v193, v41, v46
	v_sub_f32_e32 v77, v77, v57
	v_sub_f32_e32 v166, v73, v66
	v_dual_sub_f32 v180, v153, v60 :: v_dual_add_f32 v59, v100, v59
	v_dual_sub_f32 v153, v60, v153 :: v_dual_sub_f32 v186, v46, v43
	v_add_f32_e32 v73, v155, v73
	v_add_f32_e32 v32, v83, v84
	v_fma_f32 v81, -0.5, v86, v33
	v_add_f32_e32 v62, v85, v62
	v_fma_f32 v83, -0.5, v89, v33
	;; [unrolled: 2-line block ×3, first 2 shown]
	v_dual_fmac_f32 v48, -0.5, v97 :: v_dual_add_f32 v89, v102, v154
	v_fma_f32 v93, -0.5, v165, v35
	v_fmac_f32_e32 v35, -0.5, v182
	v_fma_f32 v100, -0.5, v194, v41
	v_fmac_f32_e32 v41, -0.5, v196
	v_dual_add_f32 v67, v74, v67 :: v_dual_fmamk_f32 v74, v64, 0x3f737871, v76
	v_dual_fmamk_f32 v101, v65, 0xbf737871, v80 :: v_dual_sub_f32 v158, v60, v53
	v_sub_f32_e32 v191, v69, v78
	v_dual_add_f32 v184, v42, v78 :: v_dual_sub_f32 v195, v69, v61
	v_sub_f32_e32 v188, v78, v69
	v_add_f32_e32 v190, v78, v54
	s_delay_alu instid0(VALU_DEP_3)
	v_dual_sub_f32 v192, v61, v54 :: v_dual_add_f32 v69, v184, v69
	v_add_f32_e32 v33, v90, v91
	v_add_f32_e32 v85, v95, v96
	v_fma_f32 v90, -0.5, v156, v34
	v_fma_f32 v34, -0.5, v161, v34
	v_add_f32_e32 v96, v153, v183
	v_dual_fmac_f32 v76, 0xbf737871, v64 :: v_dual_fmamk_f32 v153, v77, 0xbf737871, v93
	v_dual_add_f32 v55, v62, v55 :: v_dual_add_f32 v88, v105, v106
	v_dual_add_f32 v63, v70, v63 :: v_dual_fmamk_f32 v102, v72, 0x3f737871, v83
	v_fmac_f32_e32 v83, 0xbf737871, v72
	v_dual_add_f32 v60, v164, v60 :: v_dual_fmamk_f32 v105, v94, 0xbf737871, v48
	v_fmamk_f32 v106, v104, 0x3f737871, v47
	v_dual_add_f32 v66, v73, v66 :: v_dual_fmac_f32 v101, 0x3f167918, v64
	v_dual_fmamk_f32 v70, v75, 0x3f737871, v84 :: v_dual_fmac_f32 v93, 0x3f737871, v77
	s_delay_alu instid0(VALU_DEP_4)
	v_dual_fmac_f32 v74, 0x3f167918, v65 :: v_dual_fmac_f32 v105, 0x3f167918, v75
	v_sub_f32_e32 v78, v78, v54
	v_dual_add_f32 v86, v98, v99 :: v_dual_add_f32 v91, v159, v160
	v_add_f32_e32 v95, v180, v181
	v_fma_f32 v97, -0.5, v185, v42
	v_add_f32_e32 v98, v188, v189
	v_dual_fmac_f32 v42, -0.5, v190 :: v_dual_add_f32 v53, v60, v53
	v_dual_add_f32 v99, v191, v192 :: v_dual_fmac_f32 v80, 0x3f737871, v65
	s_delay_alu instid0(VALU_DEP_4)
	v_fmamk_f32 v155, v186, 0x3f737871, v97
	v_dual_fmamk_f32 v62, v71, 0xbf737871, v81 :: v_dual_fmamk_f32 v159, v78, 0xbf737871, v100
	v_dual_fmac_f32 v81, 0x3f737871, v71 :: v_dual_fmac_f32 v48, 0x3f737871, v94
	v_add_f32_e32 v51, v55, v51
	v_dual_add_f32 v52, v59, v52 :: v_dual_fmac_f32 v97, 0xbf737871, v186
	v_fmamk_f32 v59, v103, 0xbf737871, v87
	v_fmac_f32_e32 v87, 0x3f737871, v103
	v_dual_fmamk_f32 v107, v158, 0xbf737871, v34 :: v_dual_add_f32 v58, v67, v58
	v_fmac_f32_e32 v83, 0x3f167918, v71
	v_add_f32_e32 v55, v63, v56
	v_dual_add_f32 v67, v66, v57 :: v_dual_fmac_f32 v70, 0x3f167918, v94
	v_fmac_f32_e32 v87, 0x3f167918, v104
	v_dual_fmac_f32 v74, 0x3e9e377a, v79 :: v_dual_fmac_f32 v101, 0x3e9e377a, v32
	v_fmac_f32_e32 v106, 0xbf167918, v103
	v_dual_add_f32 v92, v162, v163 :: v_dual_fmac_f32 v47, 0xbf737871, v104
	v_fmamk_f32 v73, v157, 0x3f737871, v90
	v_dual_add_f32 v60, v69, v61 :: v_dual_fmac_f32 v81, 0x3f167918, v72
	v_dual_fmac_f32 v80, 0xbf167918, v64 :: v_dual_fmac_f32 v153, 0xbf167918, v166
	v_dual_fmac_f32 v62, 0xbf167918, v72 :: v_dual_fmac_f32 v97, 0xbf167918, v187
	v_dual_fmac_f32 v107, 0x3f167918, v157 :: v_dual_add_f32 v72, v53, v50
	v_dual_fmac_f32 v70, 0x3e9e377a, v85 :: v_dual_fmac_f32 v105, 0x3e9e377a, v86
	s_delay_alu instid0(VALU_DEP_2)
	v_dual_fmac_f32 v106, 0x3e9e377a, v89 :: v_dual_fmac_f32 v107, 0x3e9e377a, v92
	v_fmac_f32_e32 v84, 0xbf737871, v75
	v_fmamk_f32 v156, v187, 0xbf737871, v42
	v_dual_fmac_f32 v76, 0xbf167918, v65 :: v_dual_fmac_f32 v59, 0xbf167918, v104
	v_dual_add_f32 v52, v52, v49 :: v_dual_fmac_f32 v47, 0x3f167918, v103
	v_fmac_f32_e32 v73, 0x3f167918, v158
	v_dual_fmac_f32 v80, 0x3e9e377a, v32 :: v_dual_fmac_f32 v83, 0x3e9e377a, v33
	v_add_f32_e32 v32, v58, v55
	v_dual_sub_f32 v49, v58, v55 :: v_dual_mul_f32 v58, 0x3f737871, v106
	v_mul_f32_e32 v65, 0xbf737871, v105
	v_dual_fmac_f32 v62, 0x3e9e377a, v82 :: v_dual_fmac_f32 v59, 0x3e9e377a, v88
	s_delay_alu instid0(VALU_DEP_3) | instskip(NEXT) | instid1(VALU_DEP_3)
	v_dual_fmac_f32 v87, 0x3e9e377a, v88 :: v_dual_fmac_f32 v58, 0x3e9e377a, v105
	v_fmac_f32_e32 v65, 0x3e9e377a, v106
	v_fmamk_f32 v154, v166, 0x3f737871, v35
	v_fmac_f32_e32 v35, 0xbf737871, v166
	v_fmac_f32_e32 v84, 0xbf167918, v94
	v_dual_mul_f32 v64, 0xbf167918, v70 :: v_dual_fmac_f32 v159, 0xbf167918, v195
	v_dual_fmac_f32 v76, 0x3e9e377a, v79 :: v_dual_fmac_f32 v81, 0x3e9e377a, v82
	s_delay_alu instid0(VALU_DEP_3) | instskip(NEXT) | instid1(VALU_DEP_3)
	v_fmac_f32_e32 v84, 0x3e9e377a, v85
	v_fmac_f32_e32 v64, 0x3f4f1bbd, v59
	v_mul_f32_e32 v69, 0xbf4f1bbd, v87
	v_fmac_f32_e32 v102, 0xbf167918, v71
	v_fmac_f32_e32 v73, 0x3e9e377a, v91
	;; [unrolled: 1-line block ×3, first 2 shown]
	v_dual_fmac_f32 v93, 0x3f167918, v166 :: v_dual_sub_f32 v50, v51, v52
	v_fmac_f32_e32 v69, 0xbf167918, v84
	v_fmac_f32_e32 v102, 0x3e9e377a, v33
	v_mul_f32_e32 v57, 0x3f167918, v59
	v_add_f32_e32 v33, v51, v52
	v_fmac_f32_e32 v47, 0x3e9e377a, v89
	v_add_f32_e32 v56, v81, v69
	s_delay_alu instid0(VALU_DEP_4) | instskip(SKIP_1) | instid1(VALU_DEP_4)
	v_dual_add_f32 v52, v102, v65 :: v_dual_fmac_f32 v57, 0x3f4f1bbd, v70
	v_fmac_f32_e32 v48, 0xbf167918, v75
	v_mul_f32_e32 v66, 0xbe9e377a, v47
	v_sub_f32_e32 v46, v45, v46
	v_add_f32_e32 v45, v193, v45
	v_dual_fmac_f32 v90, 0xbf737871, v157 :: v_dual_add_f32 v71, v60, v54
	v_fmac_f32_e32 v48, 0x3e9e377a, v86
	v_dual_fmac_f32 v35, 0x3f167918, v77 :: v_dual_fmac_f32 v156, 0x3f167918, v186
	v_fmac_f32_e32 v155, 0x3f167918, v187
	s_delay_alu instid0(VALU_DEP_3) | instskip(SKIP_3) | instid1(VALU_DEP_4)
	v_dual_add_f32 v51, v101, v58 :: v_dual_fmac_f32 v66, 0xbf737871, v48
	v_mul_f32_e32 v60, 0xbe9e377a, v48
	v_mul_f32_e32 v63, 0xbf4f1bbd, v84
	v_dual_add_f32 v48, v62, v64 :: v_dual_sub_f32 v59, v101, v58
	v_add_f32_e32 v54, v83, v66
	v_sub_f32_e32 v58, v62, v64
	v_sub_f32_e32 v62, v83, v66
	v_fmamk_f32 v66, v195, 0x3f737871, v41
	v_dual_fmac_f32 v41, 0xbf737871, v195 :: v_dual_sub_f32 v64, v81, v69
	v_sub_f32_e32 v69, v44, v43
	v_dual_fmac_f32 v155, 0x3e9e377a, v98 :: v_dual_fmac_f32 v156, 0x3e9e377a, v99
	s_delay_alu instid0(VALU_DEP_4) | instskip(SKIP_1) | instid1(VALU_DEP_4)
	v_fmac_f32_e32 v66, 0xbf167918, v78
	v_fmac_f32_e32 v42, 0x3f737871, v187
	v_dual_add_f32 v46, v46, v69 :: v_dual_fmac_f32 v63, 0x3f167918, v87
	v_fmac_f32_e32 v41, 0x3f167918, v78
	v_fmac_f32_e32 v35, 0x3e9e377a, v96
	s_delay_alu instid0(VALU_DEP_3) | instskip(SKIP_2) | instid1(VALU_DEP_3)
	v_dual_fmac_f32 v153, 0x3e9e377a, v95 :: v_dual_fmac_f32 v66, 0x3e9e377a, v46
	v_dual_fmac_f32 v60, 0x3f737871, v47 :: v_dual_add_f32 v47, v74, v57
	v_dual_fmac_f32 v42, 0xbf167918, v186 :: v_dual_sub_f32 v57, v74, v57
	v_mul_f32_e32 v75, 0x3f737871, v66
	s_delay_alu instid0(VALU_DEP_3)
	v_dual_fmac_f32 v34, 0xbf167918, v157 :: v_dual_sub_f32 v61, v80, v60
	v_dual_add_f32 v53, v80, v60 :: v_dual_sub_f32 v60, v102, v65
	v_sub_f32_e32 v65, v43, v44
	v_dual_fmac_f32 v97, 0x3e9e377a, v98 :: v_dual_fmac_f32 v42, 0x3e9e377a, v99
	v_fmac_f32_e32 v75, 0x3e9e377a, v156
	v_dual_add_f32 v44, v45, v44 :: v_dual_fmac_f32 v41, 0x3e9e377a, v46
	s_delay_alu instid0(VALU_DEP_4) | instskip(SKIP_2) | instid1(VALU_DEP_3)
	v_dual_add_f32 v65, v197, v65 :: v_dual_fmac_f32 v90, 0xbf167918, v158
	v_dual_add_f32 v55, v76, v63 :: v_dual_fmac_f32 v154, 0xbf167918, v77
	v_sub_f32_e32 v63, v76, v63
	v_fmac_f32_e32 v159, 0x3e9e377a, v65
	v_fmac_f32_e32 v100, 0x3f737871, v78
	v_dual_add_f32 v78, v44, v43 :: v_dual_mul_f32 v77, 0xbf4f1bbd, v97
	v_fmac_f32_e32 v90, 0x3e9e377a, v91
	s_delay_alu instid0(VALU_DEP_4) | instskip(SKIP_2) | instid1(VALU_DEP_3)
	v_mul_f32_e32 v74, 0x3f167918, v159
	v_dual_mul_f32 v76, 0xbe9e377a, v42 :: v_dual_mul_f32 v81, 0xbe9e377a, v41
	v_dual_mul_f32 v80, 0xbf737871, v156 :: v_dual_add_f32 v43, v67, v71
	v_fmac_f32_e32 v74, 0x3f4f1bbd, v155
	v_fmac_f32_e32 v100, 0x3f167918, v195
	s_delay_alu instid0(VALU_DEP_4) | instskip(SKIP_1) | instid1(VALU_DEP_4)
	v_fmac_f32_e32 v81, 0xbf737871, v42
	v_dual_sub_f32 v71, v67, v71 :: v_dual_fmac_f32 v34, 0x3e9e377a, v92
	v_add_f32_e32 v45, v73, v74
	s_delay_alu instid0(VALU_DEP_4) | instskip(NEXT) | instid1(VALU_DEP_4)
	v_dual_sub_f32 v73, v73, v74 :: v_dual_fmac_f32 v100, 0x3e9e377a, v65
	v_add_f32_e32 v70, v35, v81
	v_dual_sub_f32 v35, v35, v81 :: v_dual_add_f32 v44, v72, v78
	v_add_lshl_u32 v180, v37, v38, 3
	v_and_b32_e32 v37, 0xffff, v39
	v_mul_f32_e32 v82, 0xbf4f1bbd, v100
	v_mul_f32_e32 v79, 0xbf167918, v155
	v_fmac_f32_e32 v77, 0x3f167918, v100
	v_lshrrev_b16 v38, 2, v36
	v_dual_fmac_f32 v93, 0x3e9e377a, v95 :: v_dual_fmac_f32 v154, 0x3e9e377a, v96
	v_fmac_f32_e32 v82, 0xbf167918, v97
	v_fmac_f32_e32 v79, 0x3f4f1bbd, v159
	;; [unrolled: 1-line block ×3, first 2 shown]
	v_dual_add_f32 v41, v90, v77 :: v_dual_fmac_f32 v80, 0x3e9e377a, v66
	s_delay_alu instid0(VALU_DEP_3)
	v_dual_add_f32 v46, v153, v79 :: v_dual_lshlrev_b32 v181, 3, v37
	ds_store_2addr_b64 v180, v[32:33], v[47:48] offset1:10
	ds_store_2addr_b64 v180, v[51:52], v[53:54] offset0:20 offset1:30
	ds_store_2addr_b64 v180, v[55:56], v[49:50] offset0:40 offset1:50
	v_dual_add_f32 v65, v107, v75 :: v_dual_and_b32 v32, 0xffff, v38
	v_dual_add_f32 v66, v154, v80 :: v_dual_add_nc_u32 v33, 0xffffff9c, v167
	v_sub_f32_e32 v75, v107, v75
	v_add_f32_e32 v69, v34, v76
	s_delay_alu instid0(VALU_DEP_4)
	v_mul_u32_u24_e32 v32, 0x147b, v32
	v_add_f32_e32 v42, v93, v82
	v_sub_f32_e32 v34, v34, v76
	v_dual_sub_f32 v77, v90, v77 :: v_dual_sub_f32 v72, v72, v78
	v_sub_f32_e32 v78, v93, v82
	ds_store_2addr_b64 v180, v[57:58], v[59:60] offset0:60 offset1:70
	ds_store_2addr_b64 v180, v[61:62], v[63:64] offset0:80 offset1:90
	ds_store_2addr_b64 v181, v[43:44], v[45:46] offset1:10
	ds_store_2addr_b64 v181, v[65:66], v[69:70] offset0:20 offset1:30
	v_lshrrev_b32_e32 v70, 17, v32
	v_sub_f32_e32 v74, v153, v79
	s_wait_alu 0xfffd
	v_dual_sub_f32 v76, v154, v80 :: v_dual_cndmask_b32 v69, v33, v167
	ds_store_2addr_b64 v181, v[41:42], v[71:72] offset0:40 offset1:50
	ds_store_2addr_b64 v181, v[73:74], v[75:76] offset0:60 offset1:70
	;; [unrolled: 1-line block ×3, first 2 shown]
	v_mul_lo_u16 v34, 0x64, v70
	v_mul_i32_i24_e32 v32, 0x48, v69
	v_mul_hi_i32_i24_e32 v33, 0x48, v69
	global_wb scope:SCOPE_SE
	s_wait_dscnt 0x0
	s_barrier_signal -1
	v_sub_nc_u16 v71, v36, v34
	v_add_co_u32 v32, vcc_lo, s10, v32
	s_wait_alu 0xfffd
	v_add_co_ci_u32_e32 v33, vcc_lo, s11, v33, vcc_lo
	s_delay_alu instid0(VALU_DEP_3)
	v_mul_lo_u16 v34, 0x48, v71
	s_barrier_wait -1
	global_inv scope:SCOPE_SE
	s_clause 0x3
	global_load_b128 v[60:63], v[32:33], off offset:720
	global_load_b128 v[56:59], v[32:33], off offset:736
	;; [unrolled: 1-line block ×4, first 2 shown]
	v_and_b32_e32 v34, 0xffff, v34
	v_cmp_lt_u16_e32 vcc_lo, 0x63, v68
	v_mad_u16 v70, 0x3e8, v70, v71
	s_delay_alu instid0(VALU_DEP_3)
	v_add_co_u32 v64, s2, s10, v34
	s_wait_alu 0xf1ff
	v_add_co_ci_u32_e64 v65, null, s11, 0, s2
	s_clause 0x5
	global_load_b64 v[155:156], v[32:33], off offset:784
	global_load_b128 v[44:47], v[64:65], off offset:720
	global_load_b128 v[40:43], v[64:65], off offset:736
	;; [unrolled: 1-line block ×4, first 2 shown]
	global_load_b64 v[153:154], v[64:65], off offset:784
	ds_load_2addr_b64 v[78:81], v177 offset0:16 offset1:216
	ds_load_2addr_b64 v[90:93], v172 offset0:32 offset1:232
	;; [unrolled: 1-line block ×3, first 2 shown]
	ds_load_2addr_b64 v[98:101], v171 offset1:200
	ds_load_2addr_b64 v[102:105], v175 offset0:16 offset1:216
	ds_load_2addr_b64 v[157:160], v170 offset0:32 offset1:232
	;; [unrolled: 1-line block ×3, first 2 shown]
	ds_load_2addr_b64 v[182:185], v169 offset1:200
	ds_load_2addr_b64 v[186:189], v173 offset0:16 offset1:216
	ds_load_2addr_b64 v[64:67], v168 offset1:200
	s_wait_alu 0xfffd
	v_cndmask_b32_e64 v68, 0, 0x3e8, vcc_lo
	global_wb scope:SCOPE_SE
	s_wait_loadcnt_dscnt 0x0
	s_barrier_signal -1
	s_barrier_wait -1
	global_inv scope:SCOPE_SE
	s_add_nc_u64 s[2:3], s[8:9], 0x7d00
	v_mul_f32_e32 v106, v90, v63
	v_dual_mul_f32 v88, v95, v57 :: v_dual_mul_f32 v197, v182, v51
	v_mul_f32_e32 v166, v98, v59
	v_mul_f32_e32 v193, v157, v55
	;; [unrolled: 1-line block ×6, first 2 shown]
	v_dual_mul_f32 v190, v103, v53 :: v_dual_mul_f32 v199, v186, v156
	s_delay_alu instid0(VALU_DEP_3)
	v_dual_mul_f32 v192, v158, v55 :: v_dual_fmac_f32 v107, v95, v56
	v_dual_mul_f32 v194, v162, v49 :: v_dual_mul_f32 v203, v101, v43
	v_dual_mul_f32 v196, v183, v51 :: v_dual_fmac_f32 v193, v158, v54
	v_mul_f32_e32 v77, v96, v41
	v_dual_mul_f32 v76, v104, v37 :: v_dual_fmac_f32 v197, v183, v50
	v_mul_f32_e32 v75, v163, v33
	v_fmac_f32_e32 v166, v99, v58
	v_fmac_f32_e32 v106, v91, v62
	v_dual_mul_f32 v86, v78, v61 :: v_dual_mul_f32 v201, v93, v47
	v_mul_f32_e32 v191, v102, v53
	v_dual_mul_f32 v195, v161, v49 :: v_dual_mul_f32 v198, v187, v156
	v_dual_mul_f32 v83, v100, v43 :: v_dual_mul_f32 v200, v81, v45
	v_mul_f32_e32 v205, v160, v39
	v_dual_mul_f32 v72, v80, v45 :: v_dual_mul_f32 v207, v185, v35
	v_dual_mul_f32 v82, v92, v47 :: v_dual_fmac_f32 v191, v103, v52
	v_dual_mul_f32 v202, v97, v41 :: v_dual_mul_f32 v85, v184, v35
	v_dual_mul_f32 v204, v105, v37 :: v_dual_fmac_f32 v195, v162, v48
	v_dual_mul_f32 v84, v159, v39 :: v_dual_fmac_f32 v77, v97, v40
	v_fma_f32 v89, v78, v60, -v73
	v_fma_f32 v90, v90, v62, -v87
	;; [unrolled: 1-line block ×8, first 2 shown]
	v_add_f32_e32 v161, v166, v193
	v_dual_add_f32 v165, v106, v197 :: v_dual_mul_f32 v74, v188, v154
	v_dual_mul_f32 v206, v164, v33 :: v_dual_fmac_f32 v199, v187, v155
	v_dual_mul_f32 v208, v189, v154 :: v_dual_fmac_f32 v75, v164, v32
	v_dual_fmac_f32 v86, v79, v60 :: v_dual_fmac_f32 v83, v101, v42
	v_fma_f32 v103, v186, v155, -v198
	v_dual_fmac_f32 v72, v81, v44 :: v_dual_add_f32 v97, v94, v98
	v_fma_f32 v92, v92, v46, -v201
	v_fmac_f32_e32 v82, v93, v46
	v_fma_f32 v78, v96, v40, -v202
	v_fma_f32 v87, v100, v42, -v203
	v_fma_f32 v79, v104, v36, -v204
	v_dual_fmac_f32 v76, v105, v36 :: v_dual_sub_f32 v105, v102, v98
	v_fma_f32 v88, v159, v38, -v205
	v_dual_fmac_f32 v84, v160, v38 :: v_dual_add_f32 v183, v89, v91
	v_fma_f32 v93, v184, v34, -v207
	v_dual_fmac_f32 v85, v185, v34 :: v_dual_sub_f32 v100, v106, v197
	v_dual_add_f32 v96, v64, v90 :: v_dual_sub_f32 v187, v91, v95
	v_sub_f32_e32 v101, v166, v193
	v_dual_fmac_f32 v74, v189, v153 :: v_dual_add_f32 v157, v90, v102
	v_dual_sub_f32 v104, v90, v94 :: v_dual_add_f32 v189, v91, v103
	v_sub_f32_e32 v158, v94, v90
	v_dual_sub_f32 v159, v98, v102 :: v_dual_sub_f32 v164, v197, v193
	v_dual_add_f32 v160, v65, v106 :: v_dual_sub_f32 v201, v199, v195
	v_dual_add_f32 v184, v95, v99 :: v_dual_sub_f32 v209, v93, v88
	v_fma_f32 v73, v80, v44, -v200
	v_fma_f32 v80, v163, v32, -v206
	;; [unrolled: 1-line block ×3, first 2 shown]
	v_sub_f32_e32 v90, v90, v102
	v_dual_sub_f32 v162, v94, v98 :: v_dual_sub_f32 v203, v195, v199
	v_sub_f32_e32 v185, v107, v199
	v_dual_sub_f32 v186, v191, v195 :: v_dual_sub_f32 v215, v92, v93
	v_sub_f32_e32 v190, v95, v91
	v_dual_add_f32 v194, v86, v107 :: v_dual_sub_f32 v207, v83, v84
	v_dual_sub_f32 v91, v91, v103 :: v_dual_add_f32 v204, v66, v92
	v_dual_add_f32 v213, v67, v82 :: v_dual_sub_f32 v206, v82, v85
	v_dual_sub_f32 v211, v87, v92 :: v_dual_add_f32 v210, v92, v93
	v_sub_f32_e32 v212, v88, v93
	v_sub_f32_e32 v208, v92, v87
	v_add_f32_e32 v92, v96, v94
	v_fma_f32 v157, -0.5, v157, v64
	v_sub_f32_e32 v198, v95, v99
	v_dual_add_f32 v95, v183, v95 :: v_dual_add_f32 v94, v104, v105
	v_fma_f32 v105, -0.5, v97, v64
	v_fma_f32 v97, -0.5, v184, v89
	v_add_f32_e32 v96, v158, v159
	v_add_f32_e32 v104, v160, v166
	v_fma_f32 v159, -0.5, v165, v65
	v_sub_f32_e32 v200, v107, v191
	v_add_f32_e32 v202, v107, v199
	v_sub_f32_e32 v107, v191, v107
	v_dual_sub_f32 v163, v106, v166 :: v_dual_sub_f32 v182, v193, v197
	v_dual_sub_f32 v106, v166, v106 :: v_dual_add_f32 v205, v87, v88
	v_sub_f32_e32 v188, v103, v99
	v_sub_f32_e32 v192, v99, v103
	v_add_f32_e32 v196, v191, v195
	v_fma_f32 v158, -0.5, v161, v65
	v_fmac_f32_e32 v89, -0.5, v189
	v_fmamk_f32 v189, v101, 0xbf737871, v157
	v_add_f32_e32 v161, v194, v191
	v_dual_add_f32 v107, v107, v203 :: v_dual_add_f32 v92, v92, v98
	v_fmac_f32_e32 v157, 0x3f737871, v101
	s_delay_alu instid0(VALU_DEP_4)
	v_fmac_f32_e32 v189, 0x3f167918, v100
	v_fmamk_f32 v191, v162, 0x3f737871, v159
	v_add_f32_e32 v95, v95, v99
	v_fmamk_f32 v99, v185, 0x3f737871, v97
	v_fmac_f32_e32 v97, 0xbf737871, v185
	v_dual_add_f32 v98, v104, v193 :: v_dual_fmac_f32 v157, 0xbf167918, v100
	v_dual_add_f32 v214, v83, v84 :: v_dual_add_f32 v165, v204, v87
	v_dual_add_f32 v64, v163, v164 :: v_dual_add_f32 v65, v106, v182
	;; [unrolled: 1-line block ×3, first 2 shown]
	v_fma_f32 v163, -0.5, v196, v86
	v_dual_fmac_f32 v159, 0xbf737871, v162 :: v_dual_add_f32 v98, v98, v197
	v_fmac_f32_e32 v191, 0xbf167918, v90
	v_dual_fmac_f32 v86, -0.5, v202 :: v_dual_add_f32 v165, v165, v88
	v_fmamk_f32 v188, v100, 0x3f737871, v105
	v_fmac_f32_e32 v105, 0xbf737871, v100
	v_add_f32_e32 v160, v190, v192
	v_fmamk_f32 v190, v90, 0xbf737871, v158
	v_fmac_f32_e32 v158, 0x3f737871, v90
	v_dual_fmac_f32 v159, 0x3f167918, v90 :: v_dual_add_f32 v90, v95, v103
	v_dual_add_f32 v95, v161, v199 :: v_dual_fmamk_f32 v192, v91, 0xbf737871, v163
	v_fmac_f32_e32 v163, 0x3f737871, v91
	v_fmac_f32_e32 v191, 0x3e9e377a, v65
	v_fmamk_f32 v104, v186, 0xbf737871, v89
	v_dual_add_f32 v164, v200, v201 :: v_dual_fmamk_f32 v193, v198, 0x3f737871, v86
	v_fmac_f32_e32 v89, 0x3f737871, v186
	v_fma_f32 v166, -0.5, v205, v66
	s_delay_alu instid0(VALU_DEP_4)
	v_dual_fmac_f32 v104, 0x3f167918, v185 :: v_dual_fmac_f32 v163, 0x3f167918, v198
	v_fma_f32 v66, -0.5, v210, v66
	v_dual_add_f32 v184, v213, v83 :: v_dual_fmac_f32 v105, 0xbf167918, v101
	v_dual_add_f32 v92, v92, v102 :: v_dual_fmac_f32 v89, 0xbf167918, v185
	v_fmac_f32_e32 v193, 0xbf167918, v91
	v_dual_add_f32 v161, v165, v93 :: v_dual_fmac_f32 v190, 0xbf167918, v162
	v_fmac_f32_e32 v104, 0x3e9e377a, v160
	v_dual_add_f32 v183, v211, v212 :: v_dual_add_f32 v182, v208, v209
	v_fmamk_f32 v195, v207, 0xbf737871, v66
	v_fma_f32 v187, -0.5, v214, v67
	v_dual_fmac_f32 v188, 0x3f167918, v101 :: v_dual_fmac_f32 v99, 0x3f167918, v186
	v_dual_fmac_f32 v105, 0x3e9e377a, v94 :: v_dual_fmac_f32 v190, 0x3e9e377a, v64
	v_fmac_f32_e32 v86, 0xbf737871, v198
	v_fmac_f32_e32 v89, 0x3e9e377a, v160
	v_fmac_f32_e32 v193, 0x3e9e377a, v107
	v_mul_f32_e32 v160, 0xbf737871, v104
	v_fmamk_f32 v194, v206, 0x3f737871, v166
	v_dual_fmac_f32 v86, 0x3f167918, v91 :: v_dual_fmac_f32 v195, 0x3f167918, v206
	s_delay_alu instid0(VALU_DEP_3)
	v_dual_fmac_f32 v99, 0x3e9e377a, v106 :: v_dual_fmac_f32 v160, 0x3e9e377a, v193
	v_dual_sub_f32 v91, v98, v95 :: v_dual_fmac_f32 v192, 0xbf167918, v198
	v_mul_f32_e32 v101, 0x3f737871, v193
	v_dual_fmac_f32 v188, 0x3e9e377a, v94 :: v_dual_fmac_f32 v189, 0x3e9e377a, v96
	v_dual_fmac_f32 v157, 0x3e9e377a, v96 :: v_dual_fmac_f32 v86, 0x3e9e377a, v107
	v_mul_f32_e32 v107, 0xbf167918, v99
	v_dual_fmac_f32 v159, 0x3e9e377a, v65 :: v_dual_fmac_f32 v192, 0x3e9e377a, v164
	v_fmac_f32_e32 v101, 0x3e9e377a, v104
	v_add_f32_e32 v65, v98, v95
	v_fmac_f32_e32 v97, 0xbf167918, v186
	v_fmac_f32_e32 v163, 0x3e9e377a, v164
	s_delay_alu instid0(VALU_DEP_4) | instskip(SKIP_1) | instid1(VALU_DEP_4)
	v_dual_fmac_f32 v107, 0x3f4f1bbd, v192 :: v_dual_add_f32 v94, v189, v101
	v_fmac_f32_e32 v158, 0x3f167918, v162
	v_dual_sub_f32 v102, v189, v101 :: v_dual_fmac_f32 v97, 0x3e9e377a, v106
	s_delay_alu instid0(VALU_DEP_3) | instskip(NEXT) | instid1(VALU_DEP_3)
	v_dual_sub_f32 v101, v190, v107 :: v_dual_mul_f32 v162, 0xbe9e377a, v86
	v_fmac_f32_e32 v158, 0x3e9e377a, v64
	v_dual_add_f32 v64, v92, v90 :: v_dual_mul_f32 v103, 0xbe9e377a, v89
	v_fmac_f32_e32 v66, 0x3f737871, v207
	v_sub_f32_e32 v90, v92, v90
	v_mul_f32_e32 v164, 0xbf4f1bbd, v163
	v_add_f32_e32 v93, v190, v107
	v_dual_fmac_f32 v103, 0x3f737871, v86 :: v_dual_add_f32 v86, v184, v84
	v_sub_f32_e32 v87, v87, v88
	v_add_f32_e32 v95, v191, v160
	v_add_lshl_u32 v190, v69, v68, 3
	s_delay_alu instid0(VALU_DEP_4) | instskip(SKIP_3) | instid1(VALU_DEP_3)
	v_add_f32_e32 v96, v157, v103
	v_dual_sub_f32 v104, v157, v103 :: v_dual_add_f32 v157, v82, v85
	v_fmac_f32_e32 v164, 0xbf167918, v97
	v_dual_mul_f32 v106, 0xbf4f1bbd, v97 :: v_dual_sub_f32 v103, v191, v160
	v_dual_fmac_f32 v67, -0.5, v157 :: v_dual_and_b32 v68, 0xffff, v70
	v_fmac_f32_e32 v162, 0xbf737871, v89
	v_mul_f32_e32 v100, 0x3f167918, v192
	s_delay_alu instid0(VALU_DEP_4) | instskip(SKIP_3) | instid1(VALU_DEP_4)
	v_dual_sub_f32 v107, v158, v164 :: v_dual_fmac_f32 v106, 0x3f167918, v163
	v_fmamk_f32 v89, v215, 0xbf737871, v187
	v_fmac_f32_e32 v187, 0x3f737871, v215
	v_add_f32_e32 v157, v86, v85
	v_dual_fmac_f32 v195, 0x3e9e377a, v183 :: v_dual_add_f32 v98, v105, v106
	s_delay_alu instid0(VALU_DEP_3) | instskip(SKIP_4) | instid1(VALU_DEP_4)
	v_dual_sub_f32 v106, v105, v106 :: v_dual_fmac_f32 v187, 0x3f167918, v87
	v_dual_sub_f32 v105, v159, v162 :: v_dual_fmac_f32 v100, 0x3f4f1bbd, v99
	v_sub_f32_e32 v88, v82, v83
	v_fmac_f32_e32 v89, 0xbf167918, v87
	v_dual_fmac_f32 v166, 0xbf737871, v206 :: v_dual_add_f32 v99, v158, v164
	v_add_f32_e32 v92, v188, v100
	v_sub_f32_e32 v100, v188, v100
	v_sub_f32_e32 v158, v85, v84
	v_dual_sub_f32 v82, v83, v82 :: v_dual_sub_f32 v83, v84, v85
	v_dual_add_f32 v84, v73, v78 :: v_dual_add_f32 v85, v78, v81
	s_delay_alu instid0(VALU_DEP_3)
	v_add_f32_e32 v86, v88, v158
	v_fmamk_f32 v158, v87, 0x3f737871, v67
	v_fmac_f32_e32 v67, 0xbf737871, v87
	v_add_f32_e32 v82, v82, v83
	v_dual_sub_f32 v87, v78, v79 :: v_dual_fmac_f32 v66, 0xbf167918, v206
	v_add_f32_e32 v83, v84, v79
	s_delay_alu instid0(VALU_DEP_4) | instskip(SKIP_1) | instid1(VALU_DEP_3)
	v_dual_fmac_f32 v67, 0x3f167918, v215 :: v_dual_add_f32 v84, v79, v80
	v_dual_fmac_f32 v194, 0x3f167918, v207 :: v_dual_add_f32 v97, v159, v162
	;; [unrolled: 1-line block ×3, first 2 shown]
	s_delay_alu instid0(VALU_DEP_3) | instskip(NEXT) | instid1(VALU_DEP_4)
	v_fmac_f32_e32 v67, 0x3e9e377a, v82
	v_fma_f32 v84, -0.5, v84, v73
	v_dual_fmac_f32 v73, -0.5, v85 :: v_dual_sub_f32 v88, v81, v80
	v_fmac_f32_e32 v158, 0xbf167918, v215
	v_fmac_f32_e32 v89, 0x3e9e377a, v86
	;; [unrolled: 1-line block ×3, first 2 shown]
	s_delay_alu instid0(VALU_DEP_4) | instskip(NEXT) | instid1(VALU_DEP_4)
	v_dual_fmac_f32 v166, 0xbf167918, v207 :: v_dual_add_f32 v87, v87, v88
	v_fmac_f32_e32 v158, 0x3e9e377a, v82
	v_dual_add_f32 v82, v83, v81 :: v_dual_sub_f32 v83, v76, v75
	v_sub_f32_e32 v86, v77, v74
	s_delay_alu instid0(VALU_DEP_4)
	v_fmac_f32_e32 v166, 0x3e9e377a, v182
	v_fmac_f32_e32 v194, 0x3e9e377a, v182
	v_add_nc_u32_e32 v191, 0x400, v190
	v_fmamk_f32 v159, v83, 0xbf737871, v73
	v_fmamk_f32 v85, v86, 0x3f737871, v84
	v_fmac_f32_e32 v73, 0x3f737871, v83
	v_add_nc_u32_e32 v188, 0x800, v190
	v_add_nc_u32_e32 v185, 0x1000, v190
	;; [unrolled: 1-line block ×3, first 2 shown]
	v_fmac_f32_e32 v85, 0x3f167918, v83
	v_fmac_f32_e32 v84, 0xbf737871, v86
	v_dual_sub_f32 v162, v80, v81 :: v_dual_fmac_f32 v73, 0xbf167918, v86
	v_fmac_f32_e32 v159, 0x3f167918, v86
	v_sub_f32_e32 v160, v79, v78
	s_delay_alu instid0(VALU_DEP_4) | instskip(SKIP_1) | instid1(VALU_DEP_3)
	v_fmac_f32_e32 v84, 0xbf167918, v83
	v_dual_add_f32 v83, v76, v75 :: v_dual_add_f32 v86, v77, v74
	v_dual_fmac_f32 v85, 0x3e9e377a, v87 :: v_dual_add_f32 v88, v160, v162
	v_sub_f32_e32 v79, v79, v80
	s_delay_alu instid0(VALU_DEP_3)
	v_fma_f32 v83, -0.5, v83, v72
	v_sub_f32_e32 v160, v75, v74
	v_sub_f32_e32 v78, v78, v81
	v_dual_add_f32 v81, v72, v77 :: v_dual_fmac_f32 v84, 0x3e9e377a, v87
	v_fmac_f32_e32 v73, 0x3e9e377a, v88
	v_dual_sub_f32 v80, v77, v76 :: v_dual_sub_f32 v87, v74, v75
	v_dual_fmac_f32 v72, -0.5, v86 :: v_dual_sub_f32 v77, v76, v77
	s_delay_alu instid0(VALU_DEP_4)
	v_add_f32_e32 v76, v81, v76
	v_fmac_f32_e32 v159, 0x3e9e377a, v88
	ds_store_2addr_b64 v190, v[64:65], v[92:93] offset1:100
	ds_store_2addr_b64 v191, v[94:95], v[96:97] offset0:72 offset1:172
	v_dual_add_f32 v77, v77, v160 :: v_dual_fmamk_f32 v86, v78, 0xbf737871, v83
	v_add_f32_e32 v75, v76, v75
	v_dual_fmac_f32 v83, 0x3f737871, v78 :: v_dual_add_f32 v80, v80, v87
	s_delay_alu instid0(VALU_DEP_2) | instskip(SKIP_1) | instid1(VALU_DEP_3)
	v_dual_fmac_f32 v86, 0xbf167918, v79 :: v_dual_add_f32 v163, v75, v74
	v_fmamk_f32 v88, v79, 0x3f737871, v72
	v_dual_fmac_f32 v83, 0x3f167918, v79 :: v_dual_add_f32 v74, v161, v82
	s_delay_alu instid0(VALU_DEP_3) | instskip(NEXT) | instid1(VALU_DEP_3)
	v_dual_fmac_f32 v86, 0x3e9e377a, v80 :: v_dual_add_f32 v75, v157, v163
	v_fmac_f32_e32 v88, 0xbf167918, v78
	v_fmac_f32_e32 v72, 0xbf737871, v79
	v_sub_f32_e32 v82, v161, v82
	s_delay_alu instid0(VALU_DEP_4) | instskip(SKIP_1) | instid1(VALU_DEP_2)
	v_mul_f32_e32 v87, 0x3f167918, v86
	v_fmac_f32_e32 v83, 0x3e9e377a, v80
	v_fmac_f32_e32 v87, 0x3f4f1bbd, v85
	v_mul_f32_e32 v85, 0xbf167918, v85
	v_fmac_f32_e32 v88, 0x3e9e377a, v77
	s_delay_alu instid0(VALU_DEP_4) | instskip(NEXT) | instid1(VALU_DEP_2)
	v_mul_f32_e32 v182, 0xbf4f1bbd, v83
	v_mul_f32_e32 v160, 0x3f737871, v88
	s_delay_alu instid0(VALU_DEP_2) | instskip(NEXT) | instid1(VALU_DEP_2)
	v_fmac_f32_e32 v182, 0xbf167918, v84
	v_fmac_f32_e32 v160, 0x3e9e377a, v159
	v_mul_f32_e32 v159, 0xbf737871, v159
	s_delay_alu instid0(VALU_DEP_1) | instskip(NEXT) | instid1(VALU_DEP_1)
	v_fmac_f32_e32 v159, 0x3e9e377a, v88
	v_add_f32_e32 v79, v158, v159
	v_dual_add_f32 v76, v194, v87 :: v_dual_fmac_f32 v85, 0x3f4f1bbd, v86
	v_fmac_f32_e32 v72, 0x3f167918, v78
	v_mul_f32_e32 v164, 0xbf4f1bbd, v84
	v_sub_f32_e32 v84, v194, v87
	v_sub_f32_e32 v86, v195, v160
	v_dual_add_f32 v78, v195, v160 :: v_dual_sub_f32 v87, v158, v159
	v_fmac_f32_e32 v72, 0x3e9e377a, v77
	v_mul_f32_e32 v162, 0xbe9e377a, v73
	v_add_f32_e32 v77, v89, v85
	v_dual_sub_f32 v85, v89, v85 :: v_dual_fmac_f32 v164, 0x3f167918, v83
	v_sub_f32_e32 v89, v187, v182
	v_mul_f32_e32 v165, 0xbe9e377a, v72
	v_sub_f32_e32 v83, v157, v163
	s_delay_alu instid0(VALU_DEP_2) | instskip(SKIP_2) | instid1(VALU_DEP_3)
	v_fmac_f32_e32 v165, 0xbf737871, v73
	v_dual_add_f32 v73, v187, v182 :: v_dual_fmac_f32 v162, 0x3f737871, v72
	v_lshlrev_b32_e32 v182, 3, v68
	v_dual_add_f32 v72, v166, v164 :: v_dual_add_f32 v81, v67, v165
	s_delay_alu instid0(VALU_DEP_3) | instskip(NEXT) | instid1(VALU_DEP_3)
	v_dual_sub_f32 v67, v67, v165 :: v_dual_add_f32 v80, v66, v162
	v_add_nc_u32_e32 v184, 0x400, v182
	ds_store_2addr_b64 v188, v[98:99], v[90:91] offset0:144 offset1:244
	ds_store_2addr_b64 v185, v[100:101], v[102:103] offset0:88 offset1:188
	;; [unrolled: 1-line block ×3, first 2 shown]
	ds_store_2addr_b64 v182, v[74:75], v[76:77] offset1:100
	ds_store_2addr_b64 v184, v[78:79], v[80:81] offset0:72 offset1:172
	v_mad_co_u64_u32 v[90:91], null, v167, 24, s[10:11]
	v_add_nc_u32_e32 v186, 0x800, v182
	v_dual_sub_f32 v88, v166, v164 :: v_dual_add_nc_u32 v187, 0x1000, v182
	v_sub_f32_e32 v66, v66, v162
	v_add_nc_u32_e32 v189, 0x1800, v182
	ds_store_2addr_b64 v186, v[72:73], v[82:83] offset0:144 offset1:244
	ds_store_2addr_b64 v187, v[84:85], v[86:87] offset0:88 offset1:188
	;; [unrolled: 1-line block ×3, first 2 shown]
	global_wb scope:SCOPE_SE
	s_wait_dscnt 0x0
	s_barrier_signal -1
	s_barrier_wait -1
	global_inv scope:SCOPE_SE
	s_clause 0x9
	global_load_b128 v[64:67], v[90:91], off offset:7920
	global_load_b64 v[159:160], v[90:91], off offset:7936
	global_load_b128 v[72:75], v[90:91], off offset:12720
	global_load_b128 v[68:71], v[90:91], off offset:17520
	global_load_b64 v[165:166], v[90:91], off offset:12736
	global_load_b64 v[161:162], v[90:91], off offset:17536
	global_load_b128 v[80:83], v[90:91], off offset:22320
	global_load_b128 v[76:79], v[90:91], off offset:27120
	global_load_b64 v[163:164], v[90:91], off offset:22336
	global_load_b64 v[157:158], v[90:91], off offset:27136
	ds_load_2addr_b64 v[84:87], v175 offset0:16 offset1:216
	ds_load_2addr_b64 v[88:91], v174 offset0:48 offset1:248
	;; [unrolled: 1-line block ×3, first 2 shown]
	ds_load_2addr_b64 v[96:99], v169 offset1:200
	ds_load_2addr_b64 v[100:103], v170 offset0:32 offset1:232
	ds_load_2addr_b64 v[104:107], v168 offset1:200
	ds_load_2addr_b64 v[193:196], v177 offset0:16 offset1:216
	;; [unrolled: 2-line block ×3, first 2 shown]
	ds_load_2addr_b64 v[205:208], v172 offset0:32 offset1:232
	v_add_nc_u32_e32 v192, 0x6a00, v168
	s_wait_loadcnt_dscnt 0x909
	v_mul_f32_e32 v210, v84, v67
	s_wait_loadcnt_dscnt 0x708
	v_dual_mul_f32 v212, v90, v160 :: v_dual_mul_f32 v213, v87, v75
	s_wait_dscnt 0x7
	v_dual_mul_f32 v214, v86, v75 :: v_dual_mul_f32 v215, v93, v73
	s_wait_loadcnt_dscnt 0x506
	v_mul_f32_e32 v219, v97, v166
	v_mul_f32_e32 v209, v85, v67
	v_dual_mul_f32 v211, v91, v160 :: v_dual_mul_f32 v216, v92, v73
	s_wait_loadcnt_dscnt 0x101
	v_mul_f32_e32 v231, v202, v164
	s_wait_loadcnt 0x0
	v_mul_f32_e32 v235, v204, v158
	v_mul_f32_e32 v217, v95, v69
	v_dual_mul_f32 v218, v94, v69 :: v_dual_mul_f32 v233, v89, v79
	v_mul_f32_e32 v221, v99, v162
	s_wait_dscnt 0x0
	v_dual_mul_f32 v222, v98, v162 :: v_dual_mul_f32 v237, v208, v65
	v_mul_f32_e32 v223, v101, v71
	v_mul_f32_e32 v225, v103, v83
	v_dual_mul_f32 v229, v200, v77 :: v_dual_fmac_f32 v210, v85, v66
	v_fma_f32 v85, v86, v74, -v213
	v_fma_f32 v86, v92, v72, -v215
	v_fmac_f32_e32 v212, v91, v159
	v_fma_f32 v91, v203, v157, -v235
	v_fmac_f32_e32 v214, v87, v74
	v_fma_f32 v87, v96, v165, -v219
	v_dual_mul_f32 v220, v96, v166 :: v_dual_mul_f32 v227, v198, v81
	v_mul_f32_e32 v236, v203, v158
	v_fmac_f32_e32 v216, v93, v72
	v_fma_f32 v92, v94, v68, -v217
	v_fma_f32 v93, v98, v161, -v221
	;; [unrolled: 1-line block ×3, first 2 shown]
	v_mul_f32_e32 v224, v100, v71
	v_fma_f32 v90, v90, v159, -v211
	v_fma_f32 v98, v207, v64, -v237
	v_dual_mul_f32 v232, v201, v164 :: v_dual_sub_f32 v87, v86, v87
	v_fmac_f32_e32 v218, v95, v68
	v_fma_f32 v95, v102, v82, -v225
	v_mul_f32_e32 v228, v197, v81
	v_fmac_f32_e32 v222, v99, v161
	v_mul_f32_e32 v234, v88, v79
	v_fma_f32 v96, v197, v80, -v227
	v_fma_f32 v88, v88, v78, -v233
	v_dual_mul_f32 v230, v199, v77 :: v_dual_sub_f32 v197, v193, v94
	v_dual_fmac_f32 v224, v101, v70 :: v_dual_sub_f32 v101, v106, v85
	v_sub_f32_e32 v85, v98, v90
	v_fmac_f32_e32 v232, v202, v163
	v_sub_f32_e32 v90, v92, v93
	v_fmac_f32_e32 v220, v97, v165
	v_fma_f32 v97, v199, v76, -v229
	v_dual_sub_f32 v199, v195, v95 :: v_dual_fmac_f32 v228, v198, v80
	v_mul_f32_e32 v238, v207, v65
	v_fma_f32 v84, v84, v66, -v209
	v_mul_f32_e32 v226, v102, v83
	v_sub_f32_e32 v198, v194, v224
	v_sub_f32_e32 v95, v228, v232
	v_fmac_f32_e32 v238, v208, v64
	v_sub_f32_e32 v99, v104, v84
	v_dual_fmac_f32 v236, v204, v157 :: v_dual_sub_f32 v93, v218, v222
	v_fma_f32 v211, v194, 2.0, -v198
	s_delay_alu instid0(VALU_DEP_4) | instskip(NEXT) | instid1(VALU_DEP_4)
	v_sub_f32_e32 v84, v238, v212
	v_fma_f32 v204, v104, 2.0, -v99
	v_fma_f32 v212, v195, 2.0, -v199
	;; [unrolled: 1-line block ×3, first 2 shown]
	v_fmac_f32_e32 v226, v103, v82
	v_fma_f32 v104, v238, 2.0, -v84
	v_fmac_f32_e32 v234, v89, v78
	v_fma_f32 v89, v201, v163, -v231
	v_sub_f32_e32 v201, v205, v88
	v_dual_fmac_f32 v230, v200, v76 :: v_dual_sub_f32 v103, v97, v91
	v_sub_f32_e32 v102, v107, v214
	s_delay_alu instid0(VALU_DEP_4) | instskip(SKIP_1) | instid1(VALU_DEP_4)
	v_sub_f32_e32 v94, v96, v89
	v_fma_f32 v98, v98, 2.0, -v85
	v_dual_sub_f32 v203, v230, v236 :: v_dual_sub_f32 v100, v105, v210
	v_add_f32_e32 v89, v198, v90
	v_sub_f32_e32 v200, v196, v226
	v_fma_f32 v209, v107, 2.0, -v102
	v_fma_f32 v210, v193, 2.0, -v197
	;; [unrolled: 1-line block ×3, first 2 shown]
	v_add_f32_e32 v85, v100, v85
	v_sub_f32_e32 v88, v216, v220
	v_fma_f32 v105, v86, 2.0, -v87
	v_add_f32_e32 v87, v102, v87
	v_fma_f32 v107, v92, 2.0, -v90
	v_fma_f32 v193, v218, 2.0, -v93
	v_sub_f32_e32 v90, v199, v95
	v_dual_sub_f32 v95, v207, v104 :: v_dual_sub_f32 v202, v206, v234
	v_fma_f32 v208, v106, 2.0, -v101
	v_sub_f32_e32 v84, v99, v84
	v_fma_f32 v106, v216, 2.0, -v88
	v_fma_f32 v213, v196, 2.0, -v200
	;; [unrolled: 1-line block ×4, first 2 shown]
	v_sub_f32_e32 v86, v101, v88
	v_sub_f32_e32 v88, v197, v93
	v_fma_f32 v194, v96, 2.0, -v94
	v_fma_f32 v196, v97, 2.0, -v103
	v_add_f32_e32 v93, v202, v103
	v_sub_f32_e32 v103, v211, v193
	v_fma_f32 v205, v230, 2.0, -v203
	v_dual_add_f32 v91, v200, v94 :: v_dual_sub_f32 v92, v201, v203
	v_sub_f32_e32 v94, v204, v98
	v_fma_f32 v96, v99, 2.0, -v84
	v_dual_sub_f32 v98, v208, v105 :: v_dual_sub_f32 v99, v209, v106
	v_fma_f32 v97, v100, 2.0, -v85
	v_fma_f32 v100, v101, 2.0, -v86
	v_fma_f32 v101, v102, 2.0, -v87
	v_sub_f32_e32 v102, v210, v107
	v_dual_sub_f32 v106, v212, v194 :: v_dual_sub_f32 v107, v213, v195
	v_dual_sub_f32 v195, v214, v196 :: v_dual_sub_f32 v196, v215, v205
	v_fma_f32 v104, v197, 2.0, -v88
	v_fma_f32 v105, v198, 2.0, -v89
	v_fma_f32 v193, v199, 2.0, -v90
	v_fma_f32 v194, v200, 2.0, -v91
	v_fma_f32 v197, v201, 2.0, -v92
	v_fma_f32 v198, v202, 2.0, -v93
	v_fma_f32 v199, v204, 2.0, -v94
	v_fma_f32 v200, v207, 2.0, -v95
	v_fma_f32 v201, v208, 2.0, -v98
	v_fma_f32 v202, v209, 2.0, -v99
	v_fma_f32 v203, v210, 2.0, -v102
	v_fma_f32 v204, v211, 2.0, -v103
	v_fma_f32 v205, v212, 2.0, -v106
	v_fma_f32 v206, v213, 2.0, -v107
	v_fma_f32 v207, v214, 2.0, -v195
	v_fma_f32 v208, v215, 2.0, -v196
	ds_store_b64 v168, v[96:97] offset:8000
	ds_store_b64 v168, v[84:85] offset:24000
	;; [unrolled: 1-line block ×3, first 2 shown]
	ds_store_2addr_b64 v168, v[199:200], v[201:202] offset1:200
	ds_store_b64 v168, v[98:99] offset:17600
	ds_store_b64 v168, v[86:87] offset:25600
	ds_store_2addr_b64 v176, v[100:101], v[104:105] offset0:48 offset1:248
	ds_store_2addr_b64 v177, v[203:204], v[205:206] offset0:16 offset1:216
	;; [unrolled: 1-line block ×4, first 2 shown]
	ds_store_2addr_b64 v171, v[193:194], v[197:198] offset1:200
	ds_store_b64 v168, v[207:208] offset:6400
	ds_store_b64 v168, v[195:196] offset:22400
	;; [unrolled: 1-line block ×3, first 2 shown]
	global_wb scope:SCOPE_SE
	s_wait_dscnt 0x0
	s_barrier_signal -1
	s_barrier_wait -1
	global_inv scope:SCOPE_SE
	s_clause 0x13
	global_load_b64 v[88:89], v168, s[8:9] offset:32000
	global_load_b64 v[96:97], v168, s[2:3] offset:1600
	;; [unrolled: 1-line block ×20, first 2 shown]
	ds_load_2addr_b64 v[84:87], v168 offset1:200
	s_mov_b32 s2, 0xd2f1a9fc
	s_mov_b32 s3, 0x3f30624d
	s_wait_loadcnt_dscnt 0x1200
	v_mul_f32_e32 v234, v86, v97
	s_delay_alu instid0(VALU_DEP_1) | instskip(SKIP_1) | instid1(VALU_DEP_2)
	v_dual_fmac_f32 v234, v87, v96 :: v_dual_mul_f32 v91, v85, v89
	v_mul_f32_e32 v90, v84, v89
	v_fma_f32 v89, v84, v88, -v91
	s_delay_alu instid0(VALU_DEP_2)
	v_fmac_f32_e32 v90, v85, v88
	v_mul_f32_e32 v84, v87, v97
	ds_store_b64 v168, v[89:90]
	ds_load_2addr_b64 v[88:91], v177 offset0:16 offset1:216
	ds_load_2addr_b64 v[92:95], v172 offset0:32 offset1:232
	v_fma_f32 v233, v86, v96, -v84
	ds_load_2addr_b64 v[84:87], v176 offset0:48 offset1:248
	ds_load_2addr_b64 v[96:99], v171 offset1:200
	ds_load_2addr_b64 v[100:103], v175 offset0:16 offset1:216
	ds_load_2addr_b64 v[104:107], v170 offset0:32 offset1:232
	ds_load_2addr_b64 v[193:196], v174 offset0:48 offset1:248
	s_wait_loadcnt_dscnt 0x1106
	v_mul_f32_e32 v235, v89, v198
	v_mul_f32_e32 v236, v88, v198
	s_wait_loadcnt 0x10
	v_mul_f32_e32 v198, v91, v200
	v_mul_f32_e32 v238, v90, v200
	s_wait_loadcnt_dscnt 0xf05
	v_mul_f32_e32 v200, v93, v202
	v_fma_f32 v235, v88, v197, -v235
	v_fmac_f32_e32 v236, v89, v197
	v_fma_f32 v237, v90, v199, -v198
	v_fmac_f32_e32 v238, v91, v199
	ds_load_2addr_b64 v[88:91], v169 offset1:200
	v_fma_f32 v239, v92, v201, -v200
	ds_load_2addr_b64 v[197:200], v173 offset0:16 offset1:216
	s_wait_loadcnt 0xe
	v_dual_mul_f32 v240, v92, v202 :: v_dual_mul_f32 v249, v95, v204
	v_mul_f32_e32 v202, v94, v204
	s_wait_loadcnt_dscnt 0xd06
	v_mul_f32_e32 v92, v85, v206
	s_wait_loadcnt_dscnt 0xb05
	v_mul_f32_e32 v204, v96, v210
	v_fmac_f32_e32 v240, v93, v201
	v_fma_f32 v201, v94, v203, -v249
	v_dual_fmac_f32 v202, v95, v203 :: v_dual_mul_f32 v93, v84, v206
	v_mul_f32_e32 v94, v87, v208
	v_mul_f32_e32 v95, v86, v208
	;; [unrolled: 1-line block ×3, first 2 shown]
	v_fma_f32 v92, v84, v205, -v92
	s_wait_loadcnt 0xa
	v_dual_fmac_f32 v93, v85, v205 :: v_dual_mul_f32 v84, v99, v212
	v_fma_f32 v94, v86, v207, -v94
	v_mul_f32_e32 v85, v98, v212
	s_wait_loadcnt_dscnt 0x904
	v_dual_fmac_f32 v95, v87, v207 :: v_dual_mul_f32 v86, v101, v214
	s_wait_loadcnt 0x8
	v_dual_mul_f32 v87, v100, v214 :: v_dual_mul_f32 v206, v102, v216
	v_fma_f32 v203, v96, v209, -v203
	s_wait_loadcnt_dscnt 0x703
	v_mul_f32_e32 v96, v105, v218
	v_dual_fmac_f32 v204, v97, v209 :: v_dual_mul_f32 v97, v104, v218
	v_add_nc_u32_e32 v242, 0x1200, v168
	v_mul_f32_e32 v205, v103, v216
	v_fma_f32 v84, v98, v211, -v84
	s_wait_loadcnt 0x6
	v_mul_f32_e32 v98, v107, v220
	v_fmac_f32_e32 v85, v99, v211
	v_mul_f32_e32 v99, v106, v220
	s_wait_loadcnt_dscnt 0x502
	v_mul_f32_e32 v207, v194, v222
	s_wait_loadcnt 0x4
	v_dual_mul_f32 v208, v193, v222 :: v_dual_mul_f32 v209, v196, v224
	v_fma_f32 v86, v100, v213, -v86
	v_fmac_f32_e32 v87, v101, v213
	v_mul_f32_e32 v101, v195, v224
	s_wait_loadcnt_dscnt 0x301
	v_dual_mul_f32 v211, v89, v226 :: v_dual_fmac_f32 v206, v103, v215
	v_mul_f32_e32 v103, v88, v226
	s_wait_loadcnt 0x2
	v_mul_f32_e32 v213, v91, v228
	v_mul_f32_e32 v210, v90, v228
	s_wait_loadcnt_dscnt 0x100
	v_mul_f32_e32 v214, v198, v230
	v_fma_f32 v96, v104, v217, -v96
	v_mul_f32_e32 v212, v197, v230
	s_wait_loadcnt 0x0
	v_dual_fmac_f32 v97, v105, v217 :: v_dual_mul_f32 v104, v200, v232
	v_mul_f32_e32 v105, v199, v232
	v_dual_fmac_f32 v99, v107, v219 :: v_dual_add_nc_u32 v244, 0x2b00, v168
	v_dual_fmac_f32 v103, v89, v225 :: v_dual_add_nc_u32 v246, 0x4400, v168
	s_delay_alu instid0(VALU_DEP_3)
	v_dual_fmac_f32 v105, v200, v231 :: v_dual_add_nc_u32 v248, 0x5d00, v168
	v_fma_f32 v205, v102, v215, -v205
	v_fma_f32 v98, v106, v219, -v98
	v_fma_f32 v207, v193, v221, -v207
	v_fmac_f32_e32 v208, v194, v221
	v_fma_f32 v100, v195, v223, -v209
	v_fmac_f32_e32 v101, v196, v223
	v_fma_f32 v102, v88, v225, -v211
	v_fma_f32 v209, v90, v227, -v213
	v_fmac_f32_e32 v210, v91, v227
	v_fma_f32 v211, v197, v229, -v214
	v_fmac_f32_e32 v212, v198, v229
	v_fma_f32 v104, v199, v231, -v104
	ds_store_2addr_b64 v241, v[233:234], v[235:236] offset0:8 offset1:208
	ds_store_2addr_b64 v242, v[237:238], v[239:240] offset0:24 offset1:224
	;; [unrolled: 1-line block ×9, first 2 shown]
	ds_store_b64 v168, v[104:105] offset:30400
	global_wb scope:SCOPE_SE
	s_wait_dscnt 0x0
	s_barrier_signal -1
	s_barrier_wait -1
	global_inv scope:SCOPE_SE
	ds_load_2addr_b64 v[84:87], v168 offset1:200
	ds_load_2addr_b64 v[200:203], v172 offset0:32 offset1:232
	ds_load_2addr_b64 v[204:207], v171 offset1:200
	ds_load_2addr_b64 v[92:95], v170 offset0:32 offset1:232
	ds_load_2addr_b64 v[88:91], v169 offset1:200
	ds_load_2addr_b64 v[96:99], v177 offset0:16 offset1:216
	ds_load_2addr_b64 v[208:211], v176 offset0:48 offset1:248
	ds_load_2addr_b64 v[212:215], v175 offset0:16 offset1:216
	;; [unrolled: 1-line block ×4, first 2 shown]
	global_wb scope:SCOPE_SE
	s_wait_dscnt 0x0
	s_barrier_signal -1
	s_barrier_wait -1
	global_inv scope:SCOPE_SE
	v_dual_add_f32 v221, v85, v201 :: v_dual_add_f32 v216, v84, v200
	v_dual_sub_f32 v199, v205, v93 :: v_dual_sub_f32 v218, v200, v204
	v_add_f32_e32 v219, v200, v88
	v_sub_f32_e32 v220, v204, v200
	v_add_f32_e32 v222, v205, v93
	v_dual_sub_f32 v196, v200, v88 :: v_dual_sub_f32 v223, v201, v205
	v_dual_sub_f32 v224, v205, v201 :: v_dual_add_f32 v225, v86, v202
	v_sub_f32_e32 v227, v202, v206
	v_add_f32_e32 v229, v87, v203
	v_sub_f32_e32 v231, v203, v207
	v_dual_sub_f32 v232, v207, v203 :: v_dual_add_f32 v233, v202, v90
	v_dual_sub_f32 v197, v202, v90 :: v_dual_add_f32 v234, v97, v209
	v_add_f32_e32 v235, v98, v210
	v_add_f32_e32 v205, v221, v205
	v_dual_sub_f32 v221, v215, v211 :: v_dual_sub_f32 v228, v206, v202
	v_add_f32_e32 v202, v203, v91
	v_dual_sub_f32 v200, v203, v91 :: v_dual_add_f32 v203, v96, v208
	v_dual_sub_f32 v198, v201, v89 :: v_dual_add_f32 v237, v212, v100
	v_dual_sub_f32 v239, v208, v212 :: v_dual_sub_f32 v238, v213, v101
	v_dual_sub_f32 v240, v212, v208 :: v_dual_add_f32 v241, v213, v101
	v_dual_sub_f32 v242, v212, v100 :: v_dual_sub_f32 v243, v209, v213
	v_dual_sub_f32 v244, v213, v209 :: v_dual_add_f32 v203, v203, v212
	v_fma_f32 v219, -0.5, v219, v84
	v_dual_add_f32 v212, v234, v213 :: v_dual_add_f32 v213, v235, v214
	v_sub_f32_e32 v235, v103, v107
	v_dual_add_f32 v217, v204, v92 :: v_dual_sub_f32 v194, v207, v95
	v_dual_add_f32 v236, v99, v211 :: v_dual_sub_f32 v195, v204, v92
	s_delay_alu instid0(VALU_DEP_3)
	v_add_f32_e32 v221, v221, v235
	v_dual_sub_f32 v235, v104, v100 :: v_dual_add_f32 v226, v206, v94
	v_dual_add_f32 v230, v207, v95 :: v_dual_sub_f32 v193, v206, v94
	v_add_f32_e32 v245, v214, v102
	v_sub_f32_e32 v247, v210, v214
	v_dual_add_f32 v249, v215, v103 :: v_dual_sub_f32 v250, v214, v102
	v_dual_add_f32 v207, v229, v207 :: v_dual_add_f32 v204, v216, v204
	v_add_f32_e32 v235, v239, v235
	v_dual_sub_f32 v239, v101, v105 :: v_dual_sub_f32 v248, v214, v210
	v_add_f32_e32 v214, v236, v215
	v_add_f32_e32 v206, v225, v206
	v_dual_sub_f32 v225, v209, v105 :: v_dual_sub_f32 v216, v211, v215
	v_fma_f32 v217, -0.5, v217, v84
	v_sub_f32_e32 v246, v215, v103
	v_sub_f32_e32 v215, v211, v107
	v_add_f32_e32 v211, v211, v107
	v_fma_f32 v249, -0.5, v249, v99
	v_add_f32_e32 v229, v208, v104
	v_add_f32_e32 v209, v209, v105
	v_fma_f32 v230, -0.5, v230, v87
	v_fmac_f32_e32 v99, -0.5, v211
	v_sub_f32_e32 v211, v92, v88
	v_dual_fmac_f32 v87, -0.5, v202 :: v_dual_sub_f32 v202, v107, v103
	v_dual_add_f32 v201, v201, v89 :: v_dual_sub_f32 v208, v208, v104
	s_delay_alu instid0(VALU_DEP_3) | instskip(NEXT) | instid1(VALU_DEP_3)
	v_dual_add_f32 v211, v220, v211 :: v_dual_sub_f32 v220, v105, v101
	v_add_f32_e32 v202, v216, v202
	s_delay_alu instid0(VALU_DEP_3) | instskip(SKIP_1) | instid1(VALU_DEP_4)
	v_fma_f32 v201, -0.5, v201, v85
	v_fma_f32 v226, -0.5, v226, v86
	v_dual_add_f32 v220, v243, v220 :: v_dual_sub_f32 v243, v93, v89
	s_delay_alu instid0(VALU_DEP_1) | instskip(SKIP_1) | instid1(VALU_DEP_1)
	v_add_f32_e32 v224, v224, v243
	v_sub_f32_e32 v243, v95, v91
	v_add_f32_e32 v232, v232, v243
	v_sub_f32_e32 v243, v91, v95
	s_delay_alu instid0(VALU_DEP_1)
	v_add_f32_e32 v216, v231, v243
	v_fma_f32 v231, -0.5, v237, v96
	v_fma_f32 v96, -0.5, v229, v96
	;; [unrolled: 1-line block ×4, first 2 shown]
	v_sub_f32_e32 v236, v88, v92
	v_fma_f32 v209, -0.5, v222, v85
	v_fma_f32 v222, -0.5, v233, v86
	v_add_f32_e32 v85, v205, v93
	s_delay_alu instid0(VALU_DEP_4) | instskip(SKIP_1) | instid1(VALU_DEP_3)
	v_dual_fmamk_f32 v237, v193, 0xbf737871, v87 :: v_dual_add_f32 v218, v218, v236
	v_dual_sub_f32 v236, v100, v104 :: v_dual_fmac_f32 v87, 0x3f737871, v193
	v_add_f32_e32 v85, v85, v89
	v_fmamk_f32 v241, v197, 0x3f737871, v230
	s_delay_alu instid0(VALU_DEP_3) | instskip(SKIP_4) | instid1(VALU_DEP_4)
	v_dual_fmac_f32 v237, 0x3f167918, v197 :: v_dual_add_f32 v236, v240, v236
	v_dual_sub_f32 v240, v89, v93 :: v_dual_add_f32 v93, v207, v95
	v_add_f32_e32 v95, v212, v101
	v_add_f32_e32 v101, v214, v103
	v_fmamk_f32 v103, v199, 0x3f737871, v219
	v_add_f32_e32 v223, v223, v240
	v_dual_add_f32 v239, v244, v239 :: v_dual_sub_f32 v244, v90, v94
	v_add_f32_e32 v91, v93, v91
	v_dual_fmac_f32 v219, 0xbf737871, v199 :: v_dual_add_f32 v234, v210, v106
	v_fmamk_f32 v205, v208, 0x3f737871, v229
	s_delay_alu instid0(VALU_DEP_4) | instskip(SKIP_1) | instid1(VALU_DEP_4)
	v_dual_add_f32 v227, v227, v244 :: v_dual_sub_f32 v244, v106, v102
	v_sub_f32_e32 v240, v94, v90
	v_fma_f32 v86, -0.5, v234, v98
	v_dual_add_f32 v84, v204, v92 :: v_dual_fmac_f32 v219, 0x3f167918, v198
	s_delay_alu instid0(VALU_DEP_4)
	v_dual_add_f32 v244, v247, v244 :: v_dual_add_f32 v101, v101, v107
	v_dual_fmamk_f32 v207, v195, 0xbf737871, v201 :: v_dual_add_f32 v92, v206, v94
	v_dual_add_f32 v94, v203, v100 :: v_dual_fmamk_f32 v203, v225, 0xbf737871, v231
	v_dual_fmamk_f32 v206, v242, 0xbf737871, v97 :: v_dual_add_f32 v95, v95, v105
	v_dual_sub_f32 v210, v210, v106 :: v_dual_fmac_f32 v229, 0xbf737871, v208
	v_add_f32_e32 v228, v228, v240
	v_dual_sub_f32 v240, v102, v106 :: v_dual_fmac_f32 v231, 0x3f737871, v225
	v_fmamk_f32 v204, v238, 0x3f737871, v96
	v_fmac_f32_e32 v96, 0xbf737871, v238
	v_fmac_f32_e32 v97, 0x3f737871, v242
	v_dual_fmac_f32 v201, 0x3f737871, v195 :: v_dual_add_f32 v100, v213, v102
	v_dual_fmamk_f32 v102, v198, 0xbf737871, v217 :: v_dual_add_f32 v89, v85, v95
	v_fmac_f32_e32 v217, 0x3f737871, v198
	v_fmamk_f32 v233, v246, 0x3f737871, v86
	v_dual_fmac_f32 v203, 0xbf167918, v238 :: v_dual_add_f32 v94, v94, v104
	v_fmac_f32_e32 v205, 0x3f167918, v242
	v_sub_f32_e32 v95, v85, v95
	v_add_f32_e32 v85, v91, v101
	v_dual_sub_f32 v101, v91, v101 :: v_dual_fmac_f32 v206, 0x3f167918, v208
	v_dual_add_f32 v240, v248, v240 :: v_dual_fmac_f32 v217, 0x3f167918, v199
	v_dual_add_f32 v84, v84, v88 :: v_dual_fmac_f32 v231, 0x3f167918, v238
	v_fmamk_f32 v93, v210, 0x3f737871, v249
	v_dual_fmac_f32 v102, 0xbf167918, v199 :: v_dual_fmac_f32 v229, 0xbf167918, v242
	v_dual_fmac_f32 v204, 0xbf167918, v225 :: v_dual_fmac_f32 v233, 0xbf167918, v215
	s_delay_alu instid0(VALU_DEP_3)
	v_dual_fmac_f32 v96, 0x3f167918, v225 :: v_dual_fmac_f32 v93, 0x3f167918, v250
	v_fmac_f32_e32 v97, 0xbf167918, v208
	v_dual_fmac_f32 v205, 0x3e9e377a, v220 :: v_dual_fmac_f32 v206, 0x3e9e377a, v239
	v_fmamk_f32 v213, v194, 0x3f737871, v222
	v_fmamk_f32 v214, v200, 0xbf737871, v226
	v_fmac_f32_e32 v103, 0xbf167918, v198
	v_dual_fmac_f32 v102, 0x3e9e377a, v218 :: v_dual_fmac_f32 v203, 0x3e9e377a, v235
	v_dual_fmac_f32 v231, 0x3e9e377a, v235 :: v_dual_fmac_f32 v204, 0x3e9e377a, v236
	;; [unrolled: 1-line block ×3, first 2 shown]
	v_dual_fmac_f32 v233, 0x3e9e377a, v240 :: v_dual_mul_f32 v198, 0x3e9e377a, v206
	v_mul_f32_e32 v105, 0xbf737871, v206
	s_delay_alu instid0(VALU_DEP_3)
	v_dual_fmac_f32 v222, 0xbf737871, v194 :: v_dual_mul_f32 v107, 0xbf737871, v97
	v_fmac_f32_e32 v207, 0x3f167918, v196
	v_dual_fmac_f32 v201, 0xbf167918, v196 :: v_dual_add_f32 v88, v84, v94
	v_fmac_f32_e32 v103, 0x3e9e377a, v211
	v_fmac_f32_e32 v198, 0x3f737871, v204
	;; [unrolled: 1-line block ×3, first 2 shown]
	v_fmamk_f32 v212, v196, 0x3f737871, v209
	v_fmac_f32_e32 v209, 0xbf737871, v196
	v_mul_f32_e32 v196, 0x3f167918, v203
	v_add_f32_e32 v90, v92, v90
	v_dual_sub_f32 v94, v84, v94 :: v_dual_fmac_f32 v219, 0x3e9e377a, v211
	v_dual_fmac_f32 v107, 0xbe9e377a, v96 :: v_dual_sub_f32 v104, v103, v105
	v_fmac_f32_e32 v86, 0xbf737871, v246
	v_fmamk_f32 v92, v250, 0xbf737871, v99
	v_fmac_f32_e32 v99, 0x3f737871, v250
	v_fmac_f32_e32 v196, 0x3f4f1bbd, v205
	;; [unrolled: 1-line block ×4, first 2 shown]
	v_dual_fmac_f32 v222, 0x3f167918, v200 :: v_dual_fmac_f32 v241, 0x3f167918, v193
	s_delay_alu instid0(VALU_DEP_3)
	v_dual_fmac_f32 v99, 0xbf167918, v210 :: v_dual_fmac_f32 v230, 0xbf167918, v193
	v_dual_add_f32 v193, v103, v105 :: v_dual_fmac_f32 v212, 0x3f167918, v195
	v_add_f32_e32 v195, v219, v107
	v_fmac_f32_e32 v86, 0x3f167918, v215
	v_dual_fmac_f32 v214, 0xbf167918, v194 :: v_dual_fmac_f32 v87, 0xbf167918, v197
	v_dual_fmac_f32 v99, 0x3e9e377a, v221 :: v_dual_add_f32 v100, v100, v106
	v_fmac_f32_e32 v213, 0xbf167918, v200
	s_delay_alu instid0(VALU_DEP_4)
	v_fmac_f32_e32 v86, 0x3e9e377a, v240
	v_fmac_f32_e32 v229, 0x3e9e377a, v220
	v_dual_fmac_f32 v201, 0x3e9e377a, v224 :: v_dual_fmac_f32 v214, 0x3e9e377a, v227
	v_mul_f32_e32 v106, 0xbf737871, v99
	v_mul_f32_e32 v99, 0xbe9e377a, v99
	v_fmac_f32_e32 v226, 0x3f737871, v200
	v_fma_f32 v98, -0.5, v245, v98
	v_fmac_f32_e32 v249, 0xbf737871, v210
	v_fmac_f32_e32 v241, 0x3e9e377a, v216
	;; [unrolled: 1-line block ×4, first 2 shown]
	s_delay_alu instid0(VALU_DEP_4) | instskip(SKIP_2) | instid1(VALU_DEP_3)
	v_dual_mul_f32 v194, 0xbf167918, v229 :: v_dual_fmac_f32 v249, 0xbf167918, v250
	v_add_f32_e32 v84, v90, v100
	v_dual_sub_f32 v100, v90, v100 :: v_dual_fmac_f32 v217, 0x3e9e377a, v218
	v_fmac_f32_e32 v194, 0xbf4f1bbd, v231
	v_fmamk_f32 v234, v215, 0xbf737871, v98
	v_mul_f32_e32 v91, 0xbf167918, v205
	v_mul_f32_e32 v97, 0xbe9e377a, v97
	s_delay_alu instid0(VALU_DEP_4) | instskip(NEXT) | instid1(VALU_DEP_4)
	v_dual_fmac_f32 v98, 0x3f737871, v215 :: v_dual_sub_f32 v199, v217, v194
	v_fmac_f32_e32 v234, 0xbf167918, v246
	v_fmac_f32_e32 v93, 0x3e9e377a, v202
	v_dual_fmac_f32 v209, 0x3e9e377a, v223 :: v_dual_fmac_f32 v222, 0x3e9e377a, v228
	s_delay_alu instid0(VALU_DEP_3) | instskip(SKIP_1) | instid1(VALU_DEP_4)
	v_dual_sub_f32 v197, v219, v107 :: v_dual_fmac_f32 v234, 0x3e9e377a, v244
	v_fmac_f32_e32 v249, 0x3e9e377a, v202
	v_mul_f32_e32 v202, 0xbf167918, v93
	v_fmac_f32_e32 v91, 0x3f4f1bbd, v203
	s_delay_alu instid0(VALU_DEP_4) | instskip(SKIP_1) | instid1(VALU_DEP_4)
	v_mul_f32_e32 v215, 0x3f167918, v234
	v_fmac_f32_e32 v212, 0x3e9e377a, v223
	v_fmac_f32_e32 v202, 0x3f4f1bbd, v234
	v_mul_f32_e32 v200, 0xbf4f1bbd, v229
	v_dual_fmac_f32 v237, 0x3e9e377a, v232 :: v_dual_add_f32 v90, v102, v91
	s_delay_alu instid0(VALU_DEP_4) | instskip(NEXT) | instid1(VALU_DEP_3)
	v_dual_sub_f32 v102, v102, v91 :: v_dual_add_f32 v91, v212, v196
	v_fmac_f32_e32 v200, 0x3f167918, v231
	v_fmac_f32_e32 v92, 0x3f167918, v210
	;; [unrolled: 1-line block ×3, first 2 shown]
	v_sub_f32_e32 v103, v212, v196
	s_delay_alu instid0(VALU_DEP_4) | instskip(SKIP_2) | instid1(VALU_DEP_1)
	v_add_f32_e32 v93, v209, v200
	v_sub_f32_e32 v200, v209, v200
	v_dual_fmac_f32 v207, 0x3e9e377a, v224 :: v_dual_fmac_f32 v92, 0x3e9e377a, v221
	v_dual_fmac_f32 v230, 0x3e9e377a, v216 :: v_dual_sub_f32 v105, v207, v198
	s_delay_alu instid0(VALU_DEP_2) | instskip(SKIP_3) | instid1(VALU_DEP_2)
	v_mul_f32_e32 v206, 0xbf737871, v92
	v_mul_f32_e32 v216, 0x3e9e377a, v92
	v_dual_add_f32 v92, v217, v194 :: v_dual_fmac_f32 v97, 0x3f737871, v96
	v_add_f32_e32 v194, v207, v198
	v_add_f32_e32 v196, v201, v97
	v_dual_sub_f32 v198, v201, v97 :: v_dual_sub_f32 v201, v214, v202
	v_fmac_f32_e32 v106, 0xbe9e377a, v86
	v_add_f32_e32 v86, v214, v202
	s_delay_alu instid0(VALU_DEP_2) | instskip(SKIP_1) | instid1(VALU_DEP_1)
	v_dual_sub_f32 v202, v241, v215 :: v_dual_sub_f32 v209, v222, v106
	v_dual_fmac_f32 v87, 0x3e9e377a, v232 :: v_dual_fmac_f32 v206, 0x3e9e377a, v233
	v_dual_add_f32 v207, v222, v106 :: v_dual_add_f32 v208, v87, v99
	v_sub_f32_e32 v210, v87, v99
	v_add_f32_e32 v87, v241, v215
	v_dual_fmac_f32 v213, 0x3e9e377a, v228 :: v_dual_fmac_f32 v226, 0x3e9e377a, v227
	v_fmac_f32_e32 v98, 0x3f167918, v246
	s_delay_alu instid0(VALU_DEP_2) | instskip(NEXT) | instid1(VALU_DEP_2)
	v_sub_f32_e32 v203, v213, v206
	v_dual_add_f32 v205, v213, v206 :: v_dual_fmac_f32 v98, 0x3e9e377a, v244
	v_mul_f32_e32 v218, 0xbf4f1bbd, v249
	v_mul_f32_e32 v211, 0xbf167918, v249
	s_delay_alu instid0(VALU_DEP_2) | instskip(NEXT) | instid1(VALU_DEP_2)
	v_fmac_f32_e32 v218, 0x3f167918, v98
	v_fmac_f32_e32 v211, 0xbf4f1bbd, v98
	s_delay_alu instid0(VALU_DEP_2) | instskip(NEXT) | instid1(VALU_DEP_2)
	v_dual_add_f32 v99, v230, v218 :: v_dual_fmac_f32 v216, 0x3f737871, v233
	v_add_f32_e32 v98, v226, v211
	v_sub_f32_e32 v211, v226, v211
	v_sub_f32_e32 v212, v230, v218
	s_delay_alu instid0(VALU_DEP_4)
	v_add_f32_e32 v206, v237, v216
	v_sub_f32_e32 v204, v237, v216
	ds_store_b128 v178, v[88:91]
	ds_store_b128 v178, v[193:196] offset:16
	ds_store_b128 v178, v[92:95] offset:32
	;; [unrolled: 1-line block ×4, first 2 shown]
	ds_store_b128 v179, v[84:87]
	ds_store_b128 v179, v[205:208] offset:16
	ds_store_b128 v179, v[98:101] offset:32
	;; [unrolled: 1-line block ×4, first 2 shown]
	global_wb scope:SCOPE_SE
	s_wait_dscnt 0x0
	s_barrier_signal -1
	s_barrier_wait -1
	global_inv scope:SCOPE_SE
	ds_load_2addr_b64 v[84:87], v177 offset0:16 offset1:216
	ds_load_2addr_b64 v[88:91], v172 offset0:32 offset1:232
	;; [unrolled: 1-line block ×3, first 2 shown]
	ds_load_2addr_b64 v[96:99], v171 offset1:200
	ds_load_2addr_b64 v[100:103], v175 offset0:16 offset1:216
	ds_load_2addr_b64 v[104:107], v170 offset0:32 offset1:232
	ds_load_2addr_b64 v[193:196], v174 offset0:48 offset1:248
	ds_load_2addr_b64 v[197:200], v169 offset1:200
	ds_load_2addr_b64 v[201:204], v173 offset0:16 offset1:216
	s_wait_dscnt 0x8
	v_mul_f32_e32 v178, v29, v85
	v_mul_f32_e32 v29, v29, v84
	s_wait_dscnt 0x7
	s_delay_alu instid0(VALU_DEP_2) | instskip(NEXT) | instid1(VALU_DEP_2)
	v_dual_mul_f32 v179, v31, v89 :: v_dual_fmac_f32 v178, v28, v84
	v_fma_f32 v28, v28, v85, -v29
	v_mul_f32_e32 v29, v31, v88
	s_wait_dscnt 0x6
	v_mul_f32_e32 v31, v25, v93
	s_wait_dscnt 0x5
	v_dual_mul_f32 v25, v25, v92 :: v_dual_mul_f32 v84, v27, v97
	v_mul_f32_e32 v27, v27, v96
	v_fma_f32 v29, v30, v89, -v29
	v_fmac_f32_e32 v31, v24, v92
	s_delay_alu instid0(VALU_DEP_4)
	v_fma_f32 v24, v24, v93, -v25
	v_fmac_f32_e32 v84, v26, v96
	v_fma_f32 v25, v26, v97, -v27
	s_wait_dscnt 0x4
	v_mul_f32_e32 v26, v21, v101
	v_mul_f32_e32 v21, v21, v100
	s_wait_dscnt 0x3
	v_mul_f32_e32 v27, v23, v105
	v_mul_f32_e32 v23, v23, v104
	v_fmac_f32_e32 v179, v30, v88
	v_fmac_f32_e32 v26, v20, v100
	v_fma_f32 v20, v20, v101, -v21
	v_fmac_f32_e32 v27, v22, v104
	v_fma_f32 v21, v22, v105, -v23
	s_wait_dscnt 0x1
	v_mul_f32_e32 v22, v19, v198
	v_dual_mul_f32 v19, v19, v197 :: v_dual_mul_f32 v30, v17, v194
	v_mul_f32_e32 v17, v17, v193
	s_wait_dscnt 0x0
	v_dual_mul_f32 v93, v15, v90 :: v_dual_mul_f32 v96, v150, v204
	s_delay_alu instid0(VALU_DEP_3) | instskip(SKIP_4) | instid1(VALU_DEP_4)
	v_fma_f32 v89, v18, v198, -v19
	v_mul_f32_e32 v19, v13, v87
	v_mul_f32_e32 v13, v13, v86
	v_fma_f32 v88, v16, v194, -v17
	v_dual_fmac_f32 v96, v149, v203 :: v_dual_mul_f32 v23, v152, v202
	v_fmac_f32_e32 v19, v12, v86
	s_delay_alu instid0(VALU_DEP_4)
	v_fma_f32 v12, v12, v87, -v13
	v_mul_f32_e32 v87, v11, v99
	v_mul_f32_e32 v92, v15, v91
	v_dual_fmac_f32 v30, v16, v193 :: v_dual_mul_f32 v11, v11, v98
	v_fma_f32 v86, v14, v91, -v93
	v_mul_f32_e32 v13, v9, v95
	v_fmac_f32_e32 v87, v10, v98
	v_dual_fmac_f32 v92, v14, v90 :: v_dual_mul_f32 v91, v7, v107
	v_mul_f32_e32 v93, v1, v196
	v_mul_f32_e32 v14, v9, v94
	v_dual_mul_f32 v9, v5, v103 :: v_dual_fmac_f32 v22, v18, v197
	v_fmac_f32_e32 v13, v8, v94
	ds_load_2addr_b64 v[15:18], v168 offset1:200
	v_mul_f32_e32 v5, v5, v102
	v_fma_f32 v90, v10, v99, -v11
	v_dual_fmac_f32 v9, v4, v102 :: v_dual_mul_f32 v10, v1, v195
	v_mul_f32_e32 v7, v7, v106
	s_delay_alu instid0(VALU_DEP_4) | instskip(SKIP_2) | instid1(VALU_DEP_4)
	v_fma_f32 v1, v4, v103, -v5
	v_dual_add_f32 v4, v84, v27 :: v_dual_fmac_f32 v91, v6, v106
	v_mul_f32_e32 v85, v152, v201
	v_fma_f32 v94, v6, v107, -v7
	v_sub_f32_e32 v6, v22, v27
	v_fmac_f32_e32 v93, v0, v195
	v_fma_f32 v8, v8, v95, -v14
	v_mul_f32_e32 v95, v3, v200
	v_fma_f32 v0, v0, v196, -v10
	v_dual_add_f32 v7, v179, v22 :: v_dual_mul_f32 v10, v150, v203
	v_fmac_f32_e32 v23, v151, v201
	s_delay_alu instid0(VALU_DEP_4)
	v_fmac_f32_e32 v95, v2, v199
	s_wait_dscnt 0x0
	v_add_f32_e32 v5, v15, v179
	v_mul_f32_e32 v3, v3, v199
	v_fma_f32 v97, -0.5, v4, v15
	v_sub_f32_e32 v4, v29, v89
	v_fma_f32 v101, v149, v204, -v10
	v_add_f32_e32 v10, v25, v21
	v_fma_f32 v98, v2, v200, -v3
	s_delay_alu instid0(VALU_DEP_4) | instskip(SKIP_3) | instid1(VALU_DEP_4)
	v_dual_add_f32 v2, v5, v84 :: v_dual_fmamk_f32 v99, v4, 0xbf737871, v97
	v_sub_f32_e32 v3, v25, v21
	v_sub_f32_e32 v5, v179, v84
	v_fma_f32 v100, -0.5, v7, v15
	v_dual_add_f32 v2, v2, v27 :: v_dual_fmac_f32 v97, 0x3f737871, v4
	v_fma_f32 v104, -0.5, v10, v16
	s_delay_alu instid0(VALU_DEP_3) | instskip(NEXT) | instid1(VALU_DEP_3)
	v_dual_sub_f32 v10, v89, v21 :: v_dual_fmamk_f32 v103, v3, 0x3f737871, v100
	v_add_f32_e32 v102, v2, v22
	v_dual_sub_f32 v2, v84, v179 :: v_dual_add_f32 v5, v5, v6
	v_fmac_f32_e32 v100, 0xbf737871, v3
	v_dual_sub_f32 v6, v27, v22 :: v_dual_fmac_f32 v99, 0xbf167918, v3
	v_fmac_f32_e32 v103, 0xbf167918, v4
	v_fma_f32 v85, v151, v202, -v85
	s_delay_alu instid0(VALU_DEP_4) | instskip(NEXT) | instid1(VALU_DEP_4)
	v_fmac_f32_e32 v100, 0x3f167918, v4
	v_add_f32_e32 v2, v2, v6
	v_dual_sub_f32 v6, v179, v22 :: v_dual_fmac_f32 v97, 0x3f167918, v3
	v_add_f32_e32 v7, v16, v29
	v_add_f32_e32 v4, v29, v89
	s_delay_alu instid0(VALU_DEP_4) | instskip(NEXT) | instid1(VALU_DEP_4)
	v_dual_fmac_f32 v99, 0x3e9e377a, v5 :: v_dual_fmac_f32 v100, 0x3e9e377a, v2
	v_fmac_f32_e32 v97, 0x3e9e377a, v5
	v_fmamk_f32 v105, v6, 0x3f737871, v104
	v_sub_f32_e32 v5, v84, v27
	v_fma_f32 v27, -0.5, v4, v16
	v_dual_fmac_f32 v104, 0xbf737871, v6 :: v_dual_add_f32 v3, v7, v25
	v_sub_f32_e32 v7, v29, v25
	v_sub_f32_e32 v4, v21, v89
	s_delay_alu instid0(VALU_DEP_4) | instskip(NEXT) | instid1(VALU_DEP_4)
	v_fmamk_f32 v106, v5, 0xbf737871, v27
	v_dual_sub_f32 v14, v30, v23 :: v_dual_add_f32 v3, v3, v21
	v_sub_f32_e32 v15, v85, v88
	v_sub_f32_e32 v22, v20, v24
	s_delay_alu instid0(VALU_DEP_4) | instskip(NEXT) | instid1(VALU_DEP_4)
	v_fmac_f32_e32 v106, 0x3f167918, v6
	v_dual_fmac_f32 v103, 0x3e9e377a, v2 :: v_dual_add_f32 v84, v3, v89
	v_dual_add_f32 v2, v7, v10 :: v_dual_sub_f32 v3, v25, v29
	v_add_f32_e32 v7, v178, v31
	v_sub_f32_e32 v10, v26, v31
	global_wb scope:SCOPE_SE
	s_barrier_signal -1
	v_add_f32_e32 v3, v3, v4
	v_dual_add_f32 v4, v7, v26 :: v_dual_fmac_f32 v105, 0x3f167918, v5
	v_fmac_f32_e32 v104, 0xbf167918, v5
	v_fmac_f32_e32 v27, 0x3f737871, v5
	v_add_f32_e32 v5, v26, v30
	v_sub_f32_e32 v7, v23, v30
	s_barrier_wait -1
	v_fmac_f32_e32 v104, 0x3e9e377a, v2
	v_dual_fmac_f32 v27, 0xbf167918, v6 :: v_dual_sub_f32 v6, v24, v85
	v_dual_fmac_f32 v105, 0x3e9e377a, v2 :: v_dual_fmac_f32 v106, 0x3e9e377a, v3
	v_add_f32_e32 v2, v4, v30
	v_add_f32_e32 v4, v31, v23
	global_inv scope:SCOPE_SE
	v_add_f32_e32 v16, v2, v23
	v_sub_f32_e32 v2, v20, v88
	v_fma_f32 v5, -0.5, v5, v178
	v_dual_fmac_f32 v178, -0.5, v4 :: v_dual_fmac_f32 v27, 0x3e9e377a, v3
	s_delay_alu instid0(VALU_DEP_2) | instskip(SKIP_1) | instid1(VALU_DEP_2)
	v_dual_sub_f32 v4, v31, v26 :: v_dual_fmamk_f32 v3, v6, 0xbf737871, v5
	v_fmac_f32_e32 v5, 0x3f737871, v6
	v_dual_fmamk_f32 v11, v2, 0x3f737871, v178 :: v_dual_add_f32 v4, v4, v7
	v_fmac_f32_e32 v178, 0xbf737871, v2
	s_delay_alu instid0(VALU_DEP_4) | instskip(NEXT) | instid1(VALU_DEP_4)
	v_fmac_f32_e32 v3, 0xbf167918, v2
	v_dual_fmac_f32 v5, 0x3f167918, v2 :: v_dual_add_f32 v2, v20, v88
	v_add_f32_e32 v7, v10, v14
	s_delay_alu instid0(VALU_DEP_4) | instskip(NEXT) | instid1(VALU_DEP_4)
	v_fmac_f32_e32 v178, 0x3f167918, v6
	v_dual_fmac_f32 v3, 0x3e9e377a, v4 :: v_dual_sub_f32 v10, v26, v30
	s_delay_alu instid0(VALU_DEP_4) | instskip(SKIP_3) | instid1(VALU_DEP_1)
	v_fma_f32 v14, -0.5, v2, v28
	v_dual_sub_f32 v2, v31, v23 :: v_dual_sub_f32 v23, v88, v85
	v_dual_fmac_f32 v5, 0x3e9e377a, v4 :: v_dual_add_f32 v4, v24, v85
	v_dual_fmac_f32 v11, 0xbf167918, v6 :: v_dual_add_f32 v6, v28, v24
	v_dual_fmac_f32 v28, -0.5, v4 :: v_dual_fmac_f32 v11, 0x3e9e377a, v7
	v_sub_f32_e32 v4, v24, v20
	v_fmac_f32_e32 v178, 0x3e9e377a, v7
	v_fmamk_f32 v7, v2, 0x3f737871, v14
	s_delay_alu instid0(VALU_DEP_4)
	v_fmamk_f32 v21, v10, 0xbf737871, v28
	v_fmac_f32_e32 v28, 0x3f737871, v10
	v_add_f32_e32 v4, v4, v15
	v_add_f32_e32 v15, v22, v23
	v_fmac_f32_e32 v7, 0x3f167918, v10
	v_fmac_f32_e32 v21, 0x3f167918, v2
	v_fmac_f32_e32 v28, 0xbf167918, v2
	v_fmac_f32_e32 v14, 0xbf737871, v2
	v_add_f32_e32 v2, v6, v20
	v_sub_f32_e32 v20, v102, v16
	s_delay_alu instid0(VALU_DEP_2) | instskip(NEXT) | instid1(VALU_DEP_1)
	v_dual_add_f32 v2, v2, v88 :: v_dual_fmac_f32 v21, 0x3e9e377a, v15
	v_add_f32_e32 v29, v2, v85
	v_dual_fmac_f32 v7, 0x3e9e377a, v4 :: v_dual_fmac_f32 v28, 0x3e9e377a, v15
	s_delay_alu instid0(VALU_DEP_3) | instskip(SKIP_2) | instid1(VALU_DEP_4)
	v_mul_f32_e32 v23, 0xbf737871, v21
	v_fmac_f32_e32 v14, 0xbf167918, v10
	v_add_f32_e32 v2, v102, v16
	v_mul_f32_e32 v22, 0xbf167918, v7
	v_mul_f32_e32 v31, 0x3f4f1bbd, v7
	v_dual_fmac_f32 v23, 0x3e9e377a, v11 :: v_dual_add_f32 v102, v90, v94
	s_delay_alu instid0(VALU_DEP_3) | instskip(NEXT) | instid1(VALU_DEP_3)
	v_fmac_f32_e32 v22, 0x3f4f1bbd, v3
	v_fmac_f32_e32 v31, 0x3f167918, v3
	v_dual_add_f32 v3, v84, v29 :: v_dual_fmac_f32 v14, 0x3e9e377a, v4
	v_mul_f32_e32 v25, 0xbf737871, v28
	v_mul_f32_e32 v85, 0x3e9e377a, v21
	;; [unrolled: 1-line block ×3, first 2 shown]
	v_add_f32_e32 v6, v103, v23
	v_dual_mul_f32 v88, 0xbf4f1bbd, v14 :: v_dual_add_f32 v21, v87, v91
	s_delay_alu instid0(VALU_DEP_1) | instskip(SKIP_1) | instid1(VALU_DEP_3)
	v_fmac_f32_e32 v88, 0x3f167918, v5
	v_mul_f32_e32 v30, 0xbf167918, v14
	v_fma_f32 v89, -0.5, v21, v17
	v_sub_f32_e32 v21, v84, v29
	s_delay_alu instid0(VALU_DEP_3) | instskip(SKIP_1) | instid1(VALU_DEP_2)
	v_dual_add_f32 v15, v104, v88 :: v_dual_fmac_f32 v30, 0xbf4f1bbd, v5
	v_add_f32_e32 v5, v105, v31
	v_add_f32_e32 v14, v97, v30
	v_sub_f32_e32 v16, v97, v30
	v_sub_f32_e32 v97, v86, v98
	v_dual_fmac_f32 v85, 0x3f737871, v11 :: v_dual_fmac_f32 v28, 0x3f737871, v178
	v_add_f32_e32 v30, v17, v92
	v_sub_f32_e32 v24, v103, v23
	v_sub_f32_e32 v23, v105, v31
	s_delay_alu instid0(VALU_DEP_4)
	v_add_f32_e32 v7, v106, v85
	v_add_f32_e32 v11, v27, v28
	;; [unrolled: 1-line block ×3, first 2 shown]
	v_fmac_f32_e32 v25, 0xbe9e377a, v178
	v_dual_sub_f32 v22, v99, v22 :: v_dual_sub_f32 v31, v92, v87
	v_add_f32_e32 v99, v92, v95
	s_delay_alu instid0(VALU_DEP_3)
	v_dual_add_f32 v29, v30, v87 :: v_dual_add_f32 v10, v100, v25
	v_sub_f32_e32 v26, v100, v25
	v_sub_f32_e32 v25, v106, v85
	v_dual_fmamk_f32 v85, v97, 0xbf737871, v89 :: v_dual_sub_f32 v30, v90, v94
	v_sub_f32_e32 v84, v95, v91
	v_dual_sub_f32 v27, v27, v28 :: v_dual_add_f32 v28, v29, v91
	v_fma_f32 v99, -0.5, v99, v17
	s_delay_alu instid0(VALU_DEP_4) | instskip(NEXT) | instid1(VALU_DEP_4)
	v_fmac_f32_e32 v85, 0xbf167918, v30
	v_add_f32_e32 v29, v31, v84
	v_sub_f32_e32 v17, v104, v88
	v_add_f32_e32 v84, v28, v95
	v_fmamk_f32 v88, v30, 0x3f737871, v99
	v_dual_fmac_f32 v89, 0x3f737871, v97 :: v_dual_sub_f32 v28, v87, v92
	v_dual_fmac_f32 v85, 0x3e9e377a, v29 :: v_dual_add_f32 v100, v18, v86
	v_sub_f32_e32 v31, v91, v95
	s_delay_alu instid0(VALU_DEP_3) | instskip(SKIP_1) | instid1(VALU_DEP_3)
	v_fmac_f32_e32 v89, 0x3f167918, v30
	v_dual_fmac_f32 v88, 0xbf167918, v97 :: v_dual_sub_f32 v87, v87, v91
	v_add_f32_e32 v28, v28, v31
	v_dual_sub_f32 v31, v92, v95 :: v_dual_sub_f32 v92, v98, v94
	v_sub_f32_e32 v91, v86, v90
	v_fmac_f32_e32 v99, 0xbf737871, v30
	v_dual_add_f32 v30, v100, v90 :: v_dual_fmac_f32 v89, 0x3e9e377a, v29
	v_fma_f32 v100, -0.5, v102, v18
	v_fmac_f32_e32 v88, 0x3e9e377a, v28
	s_delay_alu instid0(VALU_DEP_4) | instskip(NEXT) | instid1(VALU_DEP_4)
	v_fmac_f32_e32 v99, 0x3f167918, v97
	v_add_f32_e32 v29, v30, v94
	s_delay_alu instid0(VALU_DEP_4) | instskip(SKIP_1) | instid1(VALU_DEP_4)
	v_dual_add_f32 v30, v86, v98 :: v_dual_fmamk_f32 v95, v31, 0x3f737871, v100
	v_fmac_f32_e32 v100, 0xbf737871, v31
	v_fmac_f32_e32 v99, 0x3e9e377a, v28
	s_delay_alu instid0(VALU_DEP_4) | instskip(NEXT) | instid1(VALU_DEP_4)
	v_add_f32_e32 v97, v29, v98
	v_fmac_f32_e32 v18, -0.5, v30
	s_delay_alu instid0(VALU_DEP_4) | instskip(SKIP_4) | instid1(VALU_DEP_4)
	v_dual_sub_f32 v29, v90, v86 :: v_dual_fmac_f32 v100, 0xbf167918, v87
	v_sub_f32_e32 v30, v94, v98
	v_dual_add_f32 v86, v19, v13 :: v_dual_fmac_f32 v95, 0x3f167918, v87
	v_add_f32_e32 v28, v91, v92
	v_fmamk_f32 v91, v87, 0xbf737871, v18
	v_dual_add_f32 v29, v29, v30 :: v_dual_fmac_f32 v18, 0x3f737871, v87
	s_delay_alu instid0(VALU_DEP_3) | instskip(NEXT) | instid1(VALU_DEP_3)
	v_dual_add_f32 v30, v86, v9 :: v_dual_fmac_f32 v95, 0x3e9e377a, v28
	v_dual_add_f32 v86, v9, v93 :: v_dual_fmac_f32 v91, 0x3f167918, v31
	v_fmac_f32_e32 v100, 0x3e9e377a, v28
	s_delay_alu instid0(VALU_DEP_3)
	v_add_f32_e32 v28, v30, v93
	v_add_f32_e32 v30, v13, v96
	v_fmac_f32_e32 v18, 0xbf167918, v31
	v_fma_f32 v31, -0.5, v86, v19
	v_sub_f32_e32 v86, v8, v101
	v_add_f32_e32 v87, v28, v96
	v_dual_fmac_f32 v19, -0.5, v30 :: v_dual_sub_f32 v28, v1, v0
	v_sub_f32_e32 v30, v13, v9
	v_sub_f32_e32 v90, v96, v93
	s_delay_alu instid0(VALU_DEP_1)
	v_dual_fmac_f32 v91, 0x3e9e377a, v29 :: v_dual_add_f32 v30, v30, v90
	v_fmac_f32_e32 v18, 0x3e9e377a, v29
	v_fmamk_f32 v29, v86, 0xbf737871, v31
	v_fmac_f32_e32 v31, 0x3f737871, v86
	v_fmamk_f32 v92, v28, 0x3f737871, v19
	v_dual_sub_f32 v94, v9, v13 :: v_dual_fmac_f32 v19, 0xbf737871, v28
	s_delay_alu instid0(VALU_DEP_4) | instskip(NEXT) | instid1(VALU_DEP_4)
	v_fmac_f32_e32 v29, 0xbf167918, v28
	v_fmac_f32_e32 v31, 0x3f167918, v28
	v_sub_f32_e32 v98, v93, v96
	s_delay_alu instid0(VALU_DEP_4) | instskip(NEXT) | instid1(VALU_DEP_4)
	v_dual_add_f32 v28, v1, v0 :: v_dual_fmac_f32 v19, 0x3f167918, v86
	v_fmac_f32_e32 v29, 0x3e9e377a, v30
	s_delay_alu instid0(VALU_DEP_4) | instskip(NEXT) | instid1(VALU_DEP_4)
	v_fmac_f32_e32 v31, 0x3e9e377a, v30
	v_dual_add_f32 v90, v94, v98 :: v_dual_sub_f32 v13, v13, v96
	v_dual_fmac_f32 v92, 0xbf167918, v86 :: v_dual_sub_f32 v9, v9, v93
	v_fma_f32 v86, -0.5, v28, v12
	v_dual_sub_f32 v93, v101, v0 :: v_dual_add_f32 v30, v8, v101
	s_delay_alu instid0(VALU_DEP_4) | instskip(NEXT) | instid1(VALU_DEP_4)
	v_dual_fmac_f32 v19, 0x3e9e377a, v90 :: v_dual_add_f32 v28, v12, v8
	v_fmac_f32_e32 v92, 0x3e9e377a, v90
	s_delay_alu instid0(VALU_DEP_4) | instskip(NEXT) | instid1(VALU_DEP_4)
	v_fmamk_f32 v90, v13, 0x3f737871, v86
	v_fmac_f32_e32 v12, -0.5, v30
	v_sub_f32_e32 v30, v8, v1
	v_fmac_f32_e32 v86, 0xbf737871, v13
	s_delay_alu instid0(VALU_DEP_2) | instskip(NEXT) | instid1(VALU_DEP_2)
	v_add_f32_e32 v30, v30, v93
	v_fmac_f32_e32 v86, 0xbf167918, v9
	s_delay_alu instid0(VALU_DEP_1) | instskip(NEXT) | instid1(VALU_DEP_1)
	v_fmac_f32_e32 v86, 0x3e9e377a, v30
	v_dual_sub_f32 v96, v0, v101 :: v_dual_mul_f32 v105, 0xbf4f1bbd, v86
	v_fmac_f32_e32 v90, 0x3f167918, v9
	v_mul_f32_e32 v102, 0xbf167918, v86
	s_delay_alu instid0(VALU_DEP_3) | instskip(NEXT) | instid1(VALU_DEP_3)
	v_fmac_f32_e32 v105, 0x3f167918, v31
	v_fmac_f32_e32 v90, 0x3e9e377a, v30
	s_delay_alu instid0(VALU_DEP_3) | instskip(NEXT) | instid1(VALU_DEP_2)
	v_fmac_f32_e32 v102, 0xbf4f1bbd, v31
	v_dual_mul_f32 v93, 0xbf167918, v90 :: v_dual_sub_f32 v8, v1, v8
	v_add_f32_e32 v1, v28, v1
	s_delay_alu instid0(VALU_DEP_1) | instskip(NEXT) | instid1(VALU_DEP_1)
	v_dual_fmac_f32 v93, 0x3f4f1bbd, v29 :: v_dual_add_f32 v0, v1, v0
	v_sub_f32_e32 v86, v85, v93
	s_delay_alu instid0(VALU_DEP_2) | instskip(SKIP_2) | instid1(VALU_DEP_3)
	v_dual_add_f32 v101, v0, v101 :: v_dual_fmamk_f32 v94, v9, 0xbf737871, v12
	v_fmac_f32_e32 v12, 0x3f737871, v9
	v_add_f32_e32 v0, v84, v87
	v_dual_sub_f32 v84, v84, v87 :: v_dual_add_f32 v1, v97, v101
	v_dual_mul_f32 v103, 0x3f4f1bbd, v90 :: v_dual_add_f32 v8, v8, v96
	s_delay_alu instid0(VALU_DEP_4) | instskip(NEXT) | instid1(VALU_DEP_2)
	v_fmac_f32_e32 v12, 0xbf167918, v13
	v_fmac_f32_e32 v103, 0x3f167918, v29
	s_delay_alu instid0(VALU_DEP_1) | instskip(NEXT) | instid1(VALU_DEP_1)
	v_dual_fmac_f32 v12, 0x3e9e377a, v8 :: v_dual_add_f32 v9, v95, v103
	v_dual_sub_f32 v87, v95, v103 :: v_dual_mul_f32 v104, 0xbe9e377a, v12
	s_delay_alu instid0(VALU_DEP_1) | instskip(NEXT) | instid1(VALU_DEP_1)
	v_fmac_f32_e32 v104, 0x3f737871, v19
	v_dual_add_f32 v31, v18, v104 :: v_dual_fmac_f32 v94, 0x3f167918, v13
	s_delay_alu instid0(VALU_DEP_1) | instskip(SKIP_3) | instid1(VALU_DEP_4)
	v_dual_add_f32 v13, v100, v105 :: v_dual_fmac_f32 v94, 0x3e9e377a, v8
	v_add_f32_e32 v8, v85, v93
	v_dual_sub_f32 v85, v97, v101 :: v_dual_mul_f32 v98, 0xbf737871, v12
	v_add_f32_e32 v12, v89, v102
	v_mul_f32_e32 v96, 0xbf737871, v94
	v_dual_mul_f32 v94, 0x3e9e377a, v94 :: v_dual_sub_f32 v93, v100, v105
	s_delay_alu instid0(VALU_DEP_4) | instskip(NEXT) | instid1(VALU_DEP_3)
	v_fmac_f32_e32 v98, 0xbe9e377a, v19
	v_fmac_f32_e32 v96, 0x3e9e377a, v92
	s_delay_alu instid0(VALU_DEP_3) | instskip(SKIP_1) | instid1(VALU_DEP_4)
	v_fmac_f32_e32 v94, 0x3f737871, v92
	v_sub_f32_e32 v92, v89, v102
	v_add_f32_e32 v30, v99, v98
	v_sub_f32_e32 v90, v99, v98
	s_delay_alu instid0(VALU_DEP_4)
	v_dual_add_f32 v28, v88, v96 :: v_dual_add_f32 v29, v91, v94
	v_dual_sub_f32 v88, v88, v96 :: v_dual_sub_f32 v89, v91, v94
	v_sub_f32_e32 v91, v18, v104
	ds_store_2addr_b64 v180, v[2:3], v[4:5] offset1:10
	ds_store_2addr_b64 v180, v[6:7], v[10:11] offset0:20 offset1:30
	ds_store_2addr_b64 v180, v[14:15], v[20:21] offset0:40 offset1:50
	;; [unrolled: 1-line block ×4, first 2 shown]
	ds_store_2addr_b64 v181, v[0:1], v[8:9] offset1:10
	ds_store_2addr_b64 v181, v[28:29], v[30:31] offset0:20 offset1:30
	ds_store_2addr_b64 v181, v[12:13], v[84:85] offset0:40 offset1:50
	;; [unrolled: 1-line block ×4, first 2 shown]
	global_wb scope:SCOPE_SE
	s_wait_dscnt 0x0
	s_barrier_signal -1
	s_barrier_wait -1
	global_inv scope:SCOPE_SE
	ds_load_2addr_b64 v[4:7], v177 offset0:16 offset1:216
	ds_load_2addr_b64 v[8:11], v172 offset0:32 offset1:232
	;; [unrolled: 1-line block ×3, first 2 shown]
	ds_load_2addr_b64 v[16:19], v171 offset1:200
	ds_load_2addr_b64 v[0:3], v168 offset1:200
	ds_load_2addr_b64 v[20:23], v175 offset0:16 offset1:216
	ds_load_2addr_b64 v[24:27], v170 offset0:32 offset1:232
	;; [unrolled: 1-line block ×3, first 2 shown]
	ds_load_2addr_b64 v[84:87], v169 offset1:200
	ds_load_2addr_b64 v[88:91], v173 offset0:16 offset1:216
	global_wb scope:SCOPE_SE
	s_wait_dscnt 0x0
	s_barrier_signal -1
	s_barrier_wait -1
	global_inv scope:SCOPE_SE
	v_mul_f32_e32 v92, v61, v5
	v_mul_f32_e32 v61, v61, v4
	s_delay_alu instid0(VALU_DEP_2) | instskip(NEXT) | instid1(VALU_DEP_2)
	v_fmac_f32_e32 v92, v60, v4
	v_fma_f32 v60, v60, v5, -v61
	v_mul_f32_e32 v61, v63, v9
	v_dual_mul_f32 v4, v63, v8 :: v_dual_mul_f32 v63, v57, v13
	v_mul_f32_e32 v5, v57, v12
	v_mul_f32_e32 v57, v59, v17
	s_delay_alu instid0(VALU_DEP_4) | instskip(NEXT) | instid1(VALU_DEP_4)
	v_fmac_f32_e32 v61, v62, v8
	v_fma_f32 v62, v62, v9, -v4
	v_fmac_f32_e32 v63, v56, v12
	v_fma_f32 v12, v56, v13, -v5
	v_fmac_f32_e32 v57, v58, v16
	v_dual_mul_f32 v4, v59, v16 :: v_dual_mul_f32 v13, v53, v21
	v_dual_mul_f32 v5, v53, v20 :: v_dual_mul_f32 v16, v55, v25
	v_mul_f32_e32 v8, v55, v24
	s_delay_alu instid0(VALU_DEP_3) | instskip(NEXT) | instid1(VALU_DEP_4)
	v_fma_f32 v17, v58, v17, -v4
	v_fmac_f32_e32 v13, v52, v20
	s_delay_alu instid0(VALU_DEP_4)
	v_fma_f32 v20, v52, v21, -v5
	v_fmac_f32_e32 v16, v54, v24
	v_mul_f32_e32 v24, v49, v29
	v_mul_f32_e32 v4, v49, v28
	;; [unrolled: 1-line block ×3, first 2 shown]
	v_fma_f32 v21, v54, v25, -v8
	s_delay_alu instid0(VALU_DEP_4) | instskip(NEXT) | instid1(VALU_DEP_4)
	v_dual_mul_f32 v25, v51, v85 :: v_dual_fmac_f32 v24, v48, v28
	v_fma_f32 v28, v48, v29, -v4
	s_delay_alu instid0(VALU_DEP_4) | instskip(SKIP_1) | instid1(VALU_DEP_4)
	v_fma_f32 v29, v50, v85, -v5
	v_dual_mul_f32 v5, v156, v88 :: v_dual_mul_f32 v4, v45, v7
	v_dual_mul_f32 v8, v45, v6 :: v_dual_fmac_f32 v25, v50, v84
	v_mul_f32_e32 v45, v47, v11
	v_mul_f32_e32 v9, v47, v10
	s_delay_alu instid0(VALU_DEP_4)
	v_fma_f32 v47, v155, v89, -v5
	v_fmac_f32_e32 v4, v44, v6
	v_fma_f32 v5, v44, v7, -v8
	v_mul_f32_e32 v6, v41, v15
	v_mul_f32_e32 v7, v41, v14
	;; [unrolled: 1-line block ×4, first 2 shown]
	v_fma_f32 v44, v46, v11, -v9
	v_mul_f32_e32 v11, v39, v26
	v_fmac_f32_e32 v6, v40, v14
	v_fma_f32 v7, v40, v15, -v7
	v_fmac_f32_e32 v41, v42, v18
	v_fma_f32 v40, v42, v19, -v8
	v_sub_f32_e32 v19, v25, v16
	v_mul_f32_e32 v8, v37, v22
	v_mul_f32_e32 v14, v33, v30
	v_dual_sub_f32 v18, v61, v57 :: v_dual_fmac_f32 v45, v46, v10
	v_add_f32_e32 v15, v0, v61
	s_delay_alu instid0(VALU_DEP_4) | instskip(NEXT) | instid1(VALU_DEP_4)
	v_fma_f32 v9, v36, v23, -v8
	v_fma_f32 v8, v32, v31, -v14
	v_mul_f32_e32 v14, v35, v86
	v_add_f32_e32 v18, v18, v19
	v_mul_f32_e32 v10, v37, v23
	v_mul_f32_e32 v37, v39, v27
	v_mul_f32_e32 v39, v33, v31
	v_fma_f32 v33, v38, v27, -v11
	v_add_f32_e32 v11, v57, v16
	v_mul_f32_e32 v27, v154, v90
	v_fmac_f32_e32 v37, v38, v26
	v_fmac_f32_e32 v39, v32, v30
	v_fma_f32 v32, v34, v87, -v14
	v_add_f32_e32 v14, v15, v57
	v_dual_mul_f32 v30, v35, v87 :: v_dual_add_f32 v35, v1, v62
	v_sub_f32_e32 v15, v17, v21
	s_delay_alu instid0(VALU_DEP_3) | instskip(NEXT) | instid1(VALU_DEP_3)
	v_dual_mul_f32 v49, v156, v89 :: v_dual_add_f32 v14, v14, v16
	v_fmac_f32_e32 v30, v34, v86
	v_fma_f32 v34, v153, v91, -v27
	v_mul_f32_e32 v31, v154, v91
	s_delay_alu instid0(VALU_DEP_4)
	v_fmac_f32_e32 v49, v155, v88
	v_add_f32_e32 v19, v14, v25
	v_sub_f32_e32 v14, v16, v25
	v_sub_f32_e32 v16, v57, v16
	v_add_f32_e32 v26, v61, v25
	v_fmac_f32_e32 v31, v153, v90
	v_sub_f32_e32 v51, v44, v32
	s_delay_alu instid0(VALU_DEP_3) | instskip(NEXT) | instid1(VALU_DEP_1)
	v_fma_f32 v26, -0.5, v26, v0
	v_fmamk_f32 v27, v15, 0x3f737871, v26
	v_fmac_f32_e32 v10, v36, v22
	v_fma_f32 v22, -0.5, v11, v0
	v_sub_f32_e32 v0, v57, v61
	v_dual_sub_f32 v11, v62, v29 :: v_dual_fmac_f32 v26, 0xbf737871, v15
	v_add_f32_e32 v36, v17, v21
	s_delay_alu instid0(VALU_DEP_3) | instskip(SKIP_1) | instid1(VALU_DEP_4)
	v_add_f32_e32 v0, v0, v14
	v_add_f32_e32 v14, v35, v17
	v_fmamk_f32 v23, v11, 0xbf737871, v22
	v_fmac_f32_e32 v22, 0x3f737871, v11
	v_fmac_f32_e32 v27, 0xbf167918, v11
	s_delay_alu instid0(VALU_DEP_4) | instskip(SKIP_2) | instid1(VALU_DEP_3)
	v_dual_fmac_f32 v26, 0x3f167918, v11 :: v_dual_add_f32 v11, v14, v21
	v_add_f32_e32 v14, v62, v29
	v_fma_f32 v35, -0.5, v36, v1
	v_dual_fmac_f32 v23, 0xbf167918, v15 :: v_dual_add_f32 v42, v11, v29
	s_delay_alu instid0(VALU_DEP_3) | instskip(SKIP_3) | instid1(VALU_DEP_4)
	v_fma_f32 v38, -0.5, v14, v1
	v_sub_f32_e32 v1, v17, v62
	v_dual_sub_f32 v11, v21, v29 :: v_dual_add_f32 v14, v92, v63
	v_dual_fmac_f32 v22, 0x3f167918, v15 :: v_dual_sub_f32 v15, v61, v25
	v_fmamk_f32 v43, v16, 0xbf737871, v38
	s_delay_alu instid0(VALU_DEP_3) | instskip(NEXT) | instid1(VALU_DEP_4)
	v_add_f32_e32 v1, v1, v11
	v_dual_add_f32 v11, v14, v13 :: v_dual_fmac_f32 v38, 0x3f737871, v16
	v_dual_add_f32 v14, v13, v24 :: v_dual_fmac_f32 v23, 0x3e9e377a, v18
	v_fmac_f32_e32 v22, 0x3e9e377a, v18
	v_fmamk_f32 v36, v15, 0x3f737871, v35
	v_sub_f32_e32 v18, v62, v17
	v_sub_f32_e32 v25, v29, v21
	v_fmac_f32_e32 v35, 0xbf737871, v15
	v_fmac_f32_e32 v43, 0x3f167918, v15
	;; [unrolled: 1-line block ×3, first 2 shown]
	v_fma_f32 v14, -0.5, v14, v92
	v_sub_f32_e32 v15, v12, v47
	v_sub_f32_e32 v17, v13, v63
	v_fmac_f32_e32 v43, 0x3e9e377a, v1
	v_fmac_f32_e32 v27, 0x3e9e377a, v0
	;; [unrolled: 1-line block ×3, first 2 shown]
	v_add_f32_e32 v0, v18, v25
	v_fmac_f32_e32 v38, 0x3e9e377a, v1
	v_fmamk_f32 v1, v15, 0xbf737871, v14
	v_fmac_f32_e32 v36, 0x3f167918, v16
	v_fmac_f32_e32 v35, 0xbf167918, v16
	v_dual_fmac_f32 v14, 0x3f737871, v15 :: v_dual_sub_f32 v25, v24, v49
	s_delay_alu instid0(VALU_DEP_3) | instskip(NEXT) | instid1(VALU_DEP_3)
	v_dual_sub_f32 v29, v28, v47 :: v_dual_fmac_f32 v36, 0x3e9e377a, v0
	v_fmac_f32_e32 v35, 0x3e9e377a, v0
	v_add_f32_e32 v0, v11, v24
	v_add_f32_e32 v11, v63, v49
	s_delay_alu instid0(VALU_DEP_2) | instskip(SKIP_1) | instid1(VALU_DEP_3)
	v_add_f32_e32 v21, v0, v49
	v_sub_f32_e32 v0, v20, v28
	v_dual_fmac_f32 v92, -0.5, v11 :: v_dual_sub_f32 v11, v63, v13
	v_sub_f32_e32 v16, v49, v24
	v_sub_f32_e32 v13, v13, v24
	s_delay_alu instid0(VALU_DEP_4) | instskip(NEXT) | instid1(VALU_DEP_4)
	v_fmac_f32_e32 v1, 0xbf167918, v0
	v_fmamk_f32 v18, v0, 0x3f737871, v92
	v_fmac_f32_e32 v92, 0xbf737871, v0
	v_dual_add_f32 v11, v11, v16 :: v_dual_add_f32 v16, v17, v25
	v_sub_f32_e32 v24, v47, v28
	s_delay_alu instid0(VALU_DEP_4) | instskip(NEXT) | instid1(VALU_DEP_4)
	v_fmac_f32_e32 v18, 0xbf167918, v15
	v_fmac_f32_e32 v92, 0x3f167918, v15
	s_delay_alu instid0(VALU_DEP_4)
	v_fmac_f32_e32 v1, 0x3e9e377a, v11
	v_fmac_f32_e32 v14, 0x3f167918, v0
	v_add_f32_e32 v0, v20, v28
	v_add_f32_e32 v15, v60, v12
	v_fmac_f32_e32 v92, 0x3e9e377a, v16
	v_fmac_f32_e32 v18, 0x3e9e377a, v16
	;; [unrolled: 1-line block ×3, first 2 shown]
	v_add_f32_e32 v11, v12, v47
	v_fma_f32 v17, -0.5, v0, v60
	v_sub_f32_e32 v0, v63, v49
	s_delay_alu instid0(VALU_DEP_3) | instskip(NEXT) | instid1(VALU_DEP_1)
	v_dual_fmac_f32 v60, -0.5, v11 :: v_dual_sub_f32 v11, v12, v20
	v_dual_sub_f32 v12, v20, v12 :: v_dual_fmamk_f32 v25, v13, 0xbf737871, v60
	v_fmac_f32_e32 v60, 0x3f737871, v13
	s_delay_alu instid0(VALU_DEP_2) | instskip(NEXT) | instid1(VALU_DEP_3)
	v_dual_add_f32 v12, v12, v29 :: v_dual_add_f32 v11, v11, v24
	v_fmac_f32_e32 v25, 0x3f167918, v0
	s_delay_alu instid0(VALU_DEP_3) | instskip(NEXT) | instid1(VALU_DEP_1)
	v_fmac_f32_e32 v60, 0xbf167918, v0
	v_fmac_f32_e32 v60, 0x3e9e377a, v12
	s_delay_alu instid0(VALU_DEP_1) | instskip(NEXT) | instid1(VALU_DEP_4)
	v_mul_f32_e32 v49, 0xbe9e377a, v60
	v_fmac_f32_e32 v25, 0x3e9e377a, v12
	s_delay_alu instid0(VALU_DEP_1) | instskip(SKIP_1) | instid1(VALU_DEP_2)
	v_mul_f32_e32 v24, 0xbf737871, v25
	v_mul_f32_e32 v48, 0x3e9e377a, v25
	v_fmac_f32_e32 v24, 0x3e9e377a, v18
	v_fmamk_f32 v16, v0, 0x3f737871, v17
	v_fmac_f32_e32 v17, 0xbf737871, v0
	v_add_f32_e32 v0, v15, v20
	s_delay_alu instid0(VALU_DEP_3) | instskip(NEXT) | instid1(VALU_DEP_2)
	v_fmac_f32_e32 v16, 0x3f167918, v13
	v_dual_fmac_f32 v17, 0xbf167918, v13 :: v_dual_add_f32 v0, v0, v28
	v_mul_f32_e32 v28, 0xbf737871, v60
	s_delay_alu instid0(VALU_DEP_3) | instskip(NEXT) | instid1(VALU_DEP_3)
	v_dual_add_f32 v13, v27, v24 :: v_dual_fmac_f32 v16, 0x3e9e377a, v11
	v_fmac_f32_e32 v17, 0x3e9e377a, v11
	s_delay_alu instid0(VALU_DEP_4) | instskip(NEXT) | instid1(VALU_DEP_3)
	v_dual_add_f32 v29, v0, v47 :: v_dual_add_f32 v0, v19, v21
	v_dual_sub_f32 v19, v19, v21 :: v_dual_mul_f32 v20, 0xbf167918, v16
	s_delay_alu instid0(VALU_DEP_3) | instskip(SKIP_2) | instid1(VALU_DEP_4)
	v_mul_f32_e32 v46, 0xbf167918, v17
	v_mul_f32_e32 v47, 0x3f4f1bbd, v16
	;; [unrolled: 1-line block ×3, first 2 shown]
	v_fmac_f32_e32 v20, 0x3f4f1bbd, v1
	s_delay_alu instid0(VALU_DEP_4) | instskip(NEXT) | instid1(VALU_DEP_4)
	v_fmac_f32_e32 v46, 0xbf4f1bbd, v14
	v_fmac_f32_e32 v47, 0x3f167918, v1
	s_delay_alu instid0(VALU_DEP_4) | instskip(NEXT) | instid1(VALU_DEP_4)
	v_dual_add_f32 v1, v42, v29 :: v_dual_fmac_f32 v50, 0x3f167918, v14
	v_add_f32_e32 v11, v23, v20
	v_dual_sub_f32 v21, v23, v20 :: v_dual_add_f32 v20, v41, v37
	v_add_f32_e32 v17, v22, v46
	v_sub_f32_e32 v23, v27, v24
	v_sub_f32_e32 v27, v22, v46
	v_fmac_f32_e32 v48, 0x3f737871, v18
	v_fma_f32 v46, -0.5, v20, v2
	v_sub_f32_e32 v20, v42, v29
	v_dual_sub_f32 v29, v40, v33 :: v_dual_fmac_f32 v28, 0xbe9e377a, v92
	v_dual_fmac_f32 v49, 0x3f737871, v92 :: v_dual_add_f32 v12, v36, v47
	v_add_f32_e32 v14, v43, v48
	s_delay_alu instid0(VALU_DEP_3)
	v_dual_sub_f32 v22, v36, v47 :: v_dual_add_f32 v15, v26, v28
	v_sub_f32_e32 v25, v26, v28
	v_add_f32_e32 v26, v2, v45
	v_sub_f32_e32 v24, v43, v48
	v_sub_f32_e32 v42, v45, v41
	;; [unrolled: 1-line block ×3, first 2 shown]
	s_delay_alu instid0(VALU_DEP_4)
	v_dual_add_f32 v47, v45, v30 :: v_dual_add_f32 v28, v26, v41
	v_add_f32_e32 v16, v38, v49
	v_fmamk_f32 v36, v51, 0xbf737871, v46
	v_sub_f32_e32 v26, v38, v49
	v_add_f32_e32 v42, v42, v43
	v_add_f32_e32 v38, v28, v37
	v_fma_f32 v2, -0.5, v47, v2
	v_dual_fmac_f32 v46, 0x3f737871, v51 :: v_dual_sub_f32 v43, v41, v45
	v_dual_sub_f32 v47, v37, v30 :: v_dual_add_f32 v48, v3, v44
	v_add_f32_e32 v49, v40, v33
	v_fmac_f32_e32 v36, 0xbf167918, v29
	v_sub_f32_e32 v28, v35, v50
	s_delay_alu instid0(VALU_DEP_4) | instskip(NEXT) | instid1(VALU_DEP_4)
	v_dual_fmac_f32 v46, 0x3f167918, v29 :: v_dual_add_f32 v43, v43, v47
	v_fma_f32 v47, -0.5, v49, v3
	v_dual_sub_f32 v37, v41, v37 :: v_dual_add_f32 v18, v35, v50
	v_sub_f32_e32 v49, v39, v31
	v_dual_add_f32 v35, v38, v30 :: v_dual_fmamk_f32 v38, v29, 0x3f737871, v2
	v_dual_fmac_f32 v2, 0xbf737871, v29 :: v_dual_add_f32 v29, v48, v40
	v_sub_f32_e32 v30, v45, v30
	v_fmac_f32_e32 v36, 0x3e9e377a, v42
	s_delay_alu instid0(VALU_DEP_4) | instskip(NEXT) | instid1(VALU_DEP_4)
	v_fmac_f32_e32 v38, 0xbf167918, v51
	v_dual_fmac_f32 v2, 0x3f167918, v51 :: v_dual_add_f32 v29, v29, v33
	v_dual_fmac_f32 v46, 0x3e9e377a, v42 :: v_dual_add_f32 v45, v44, v32
	s_delay_alu instid0(VALU_DEP_3) | instskip(SKIP_1) | instid1(VALU_DEP_4)
	v_dual_fmac_f32 v38, 0x3e9e377a, v43 :: v_dual_sub_f32 v41, v44, v40
	v_sub_f32_e32 v48, v32, v33
	v_dual_fmac_f32 v2, 0x3e9e377a, v43 :: v_dual_add_f32 v43, v29, v32
	v_fmamk_f32 v42, v30, 0x3f737871, v47
	v_dual_fmac_f32 v47, 0xbf737871, v30 :: v_dual_sub_f32 v32, v33, v32
	v_add_f32_e32 v33, v4, v6
	v_fmac_f32_e32 v3, -0.5, v45
	s_delay_alu instid0(VALU_DEP_4) | instskip(NEXT) | instid1(VALU_DEP_4)
	v_dual_fmac_f32 v42, 0x3f167918, v37 :: v_dual_add_f32 v29, v41, v48
	v_fmac_f32_e32 v47, 0xbf167918, v37
	s_delay_alu instid0(VALU_DEP_4) | instskip(NEXT) | instid1(VALU_DEP_4)
	v_add_f32_e32 v33, v33, v10
	v_fmamk_f32 v41, v37, 0xbf737871, v3
	v_fmac_f32_e32 v3, 0x3f737871, v37
	v_dual_fmac_f32 v42, 0x3e9e377a, v29 :: v_dual_add_f32 v37, v10, v39
	v_fmac_f32_e32 v47, 0x3e9e377a, v29
	v_add_f32_e32 v29, v33, v39
	v_add_f32_e32 v33, v6, v31
	v_fmac_f32_e32 v41, 0x3f167918, v30
	v_fmac_f32_e32 v3, 0xbf167918, v30
	v_fma_f32 v30, -0.5, v37, v4
	v_sub_f32_e32 v48, v10, v6
	v_dual_fmac_f32 v4, -0.5, v33 :: v_dual_sub_f32 v33, v6, v10
	v_sub_f32_e32 v6, v6, v31
	v_dual_sub_f32 v40, v40, v44 :: v_dual_sub_f32 v37, v7, v34
	v_sub_f32_e32 v44, v31, v39
	v_sub_f32_e32 v10, v10, v39
	;; [unrolled: 1-line block ×3, first 2 shown]
	s_delay_alu instid0(VALU_DEP_4)
	v_add_f32_e32 v32, v40, v32
	v_add_f32_e32 v40, v29, v31
	v_sub_f32_e32 v29, v9, v8
	v_add_f32_e32 v33, v33, v44
	v_sub_f32_e32 v31, v7, v9
	v_fmac_f32_e32 v41, 0x3e9e377a, v32
	v_fmac_f32_e32 v3, 0x3e9e377a, v32
	v_fmamk_f32 v32, v37, 0xbf737871, v30
	v_fmac_f32_e32 v30, 0x3f737871, v37
	v_fmamk_f32 v45, v29, 0x3f737871, v4
	v_dual_fmac_f32 v4, 0xbf737871, v29 :: v_dual_add_f32 v31, v31, v39
	s_delay_alu instid0(VALU_DEP_4) | instskip(NEXT) | instid1(VALU_DEP_3)
	v_fmac_f32_e32 v32, 0xbf167918, v29
	v_fmac_f32_e32 v45, 0xbf167918, v37
	s_delay_alu instid0(VALU_DEP_3) | instskip(NEXT) | instid1(VALU_DEP_3)
	v_fmac_f32_e32 v4, 0x3f167918, v37
	v_fmac_f32_e32 v32, 0x3e9e377a, v33
	v_dual_fmac_f32 v30, 0x3f167918, v29 :: v_dual_add_f32 v29, v9, v8
	s_delay_alu instid0(VALU_DEP_1) | instskip(NEXT) | instid1(VALU_DEP_2)
	v_dual_fmac_f32 v30, 0x3e9e377a, v33 :: v_dual_add_f32 v33, v7, v34
	v_fma_f32 v37, -0.5, v29, v5
	v_add_f32_e32 v29, v5, v7
	v_sub_f32_e32 v7, v9, v7
	s_delay_alu instid0(VALU_DEP_4) | instskip(NEXT) | instid1(VALU_DEP_4)
	v_fmac_f32_e32 v5, -0.5, v33
	v_fmamk_f32 v33, v6, 0x3f737871, v37
	s_delay_alu instid0(VALU_DEP_1) | instskip(NEXT) | instid1(VALU_DEP_1)
	v_fmac_f32_e32 v33, 0x3f167918, v10
	v_fmac_f32_e32 v33, 0x3e9e377a, v31
	s_delay_alu instid0(VALU_DEP_1) | instskip(SKIP_1) | instid1(VALU_DEP_1)
	v_mul_f32_e32 v51, 0x3f4f1bbd, v33
	v_fmac_f32_e32 v37, 0xbf737871, v6
	v_fmac_f32_e32 v37, 0xbf167918, v10
	s_delay_alu instid0(VALU_DEP_1) | instskip(NEXT) | instid1(VALU_DEP_1)
	v_fmac_f32_e32 v37, 0x3e9e377a, v31
	v_mul_f32_e32 v53, 0xbf4f1bbd, v37
	v_add_f32_e32 v44, v48, v49
	v_sub_f32_e32 v48, v8, v34
	v_mul_f32_e32 v50, 0xbf167918, v37
	s_delay_alu instid0(VALU_DEP_4) | instskip(NEXT) | instid1(VALU_DEP_4)
	v_fmac_f32_e32 v53, 0x3f167918, v30
	v_fmac_f32_e32 v45, 0x3e9e377a, v44
	;; [unrolled: 1-line block ×3, first 2 shown]
	v_fmamk_f32 v44, v10, 0xbf737871, v5
	v_fmac_f32_e32 v5, 0x3f737871, v10
	v_dual_add_f32 v7, v7, v48 :: v_dual_mul_f32 v10, 0xbf167918, v33
	v_fmac_f32_e32 v50, 0xbf4f1bbd, v30
	s_delay_alu instid0(VALU_DEP_4) | instskip(NEXT) | instid1(VALU_DEP_4)
	v_fmac_f32_e32 v44, 0x3f167918, v6
	v_dual_fmac_f32 v5, 0xbf167918, v6 :: v_dual_add_f32 v6, v29, v9
	s_delay_alu instid0(VALU_DEP_2) | instskip(NEXT) | instid1(VALU_DEP_2)
	v_dual_add_f32 v33, v46, v50 :: v_dual_fmac_f32 v44, 0x3e9e377a, v7
	v_dual_fmac_f32 v5, 0x3e9e377a, v7 :: v_dual_add_f32 v6, v6, v8
	s_delay_alu instid0(VALU_DEP_1) | instskip(NEXT) | instid1(VALU_DEP_2)
	v_dual_mul_f32 v39, 0xbf737871, v44 :: v_dual_mul_f32 v48, 0xbf737871, v5
	v_dual_add_f32 v49, v6, v34 :: v_dual_mul_f32 v44, 0x3e9e377a, v44
	v_mul_f32_e32 v52, 0xbe9e377a, v5
	s_delay_alu instid0(VALU_DEP_3) | instskip(NEXT) | instid1(VALU_DEP_3)
	v_dual_fmac_f32 v39, 0x3e9e377a, v45 :: v_dual_add_f32 v6, v35, v40
	v_dual_sub_f32 v5, v43, v49 :: v_dual_fmac_f32 v48, 0xbe9e377a, v4
	s_delay_alu instid0(VALU_DEP_4) | instskip(NEXT) | instid1(VALU_DEP_3)
	v_fmac_f32_e32 v44, 0x3f737871, v45
	v_dual_fmac_f32 v52, 0x3f737871, v4 :: v_dual_sub_f32 v37, v38, v39
	v_fmac_f32_e32 v10, 0x3f4f1bbd, v32
	v_fmac_f32_e32 v51, 0x3f167918, v32
	v_add_f32_e32 v29, v38, v39
	v_add_f32_e32 v31, v2, v48
	s_delay_alu instid0(VALU_DEP_4) | instskip(NEXT) | instid1(VALU_DEP_4)
	v_dual_add_f32 v7, v43, v49 :: v_dual_add_f32 v8, v36, v10
	v_dual_add_f32 v9, v42, v51 :: v_dual_add_f32 v30, v41, v44
	v_add_f32_e32 v32, v3, v52
	v_sub_f32_e32 v4, v35, v40
	v_sub_f32_e32 v2, v2, v48
	;; [unrolled: 1-line block ×3, first 2 shown]
	v_dual_add_f32 v34, v47, v53 :: v_dual_sub_f32 v35, v36, v10
	v_sub_f32_e32 v39, v46, v50
	v_sub_f32_e32 v36, v42, v51
	;; [unrolled: 1-line block ×4, first 2 shown]
	ds_store_2addr_b64 v190, v[0:1], v[11:12] offset1:100
	ds_store_2addr_b64 v191, v[13:14], v[15:16] offset0:72 offset1:172
	ds_store_2addr_b64 v188, v[17:18], v[19:20] offset0:144 offset1:244
	;; [unrolled: 1-line block ×4, first 2 shown]
	ds_store_2addr_b64 v182, v[6:7], v[8:9] offset1:100
	ds_store_2addr_b64 v184, v[29:30], v[31:32] offset0:72 offset1:172
	ds_store_2addr_b64 v186, v[33:34], v[4:5] offset0:144 offset1:244
	;; [unrolled: 1-line block ×4, first 2 shown]
	global_wb scope:SCOPE_SE
	s_wait_dscnt 0x0
	s_barrier_signal -1
	s_barrier_wait -1
	global_inv scope:SCOPE_SE
	ds_load_2addr_b64 v[0:3], v172 offset0:32 offset1:232
	ds_load_2addr_b64 v[4:7], v175 offset0:16 offset1:216
	;; [unrolled: 1-line block ×4, first 2 shown]
	ds_load_2addr_b64 v[16:19], v168 offset1:200
	ds_load_2addr_b64 v[20:23], v169 offset1:200
	ds_load_2addr_b64 v[24:27], v177 offset0:16 offset1:216
	ds_load_2addr_b64 v[28:31], v170 offset0:32 offset1:232
	ds_load_2addr_b64 v[32:35], v171 offset1:200
	ds_load_2addr_b64 v[36:39], v173 offset0:16 offset1:216
	s_wait_dscnt 0x9
	v_mul_f32_e32 v40, v65, v3
	s_wait_dscnt 0x8
	v_dual_mul_f32 v41, v65, v2 :: v_dual_mul_f32 v42, v67, v5
	s_wait_dscnt 0x6
	v_mul_f32_e32 v43, v73, v13
	v_mul_f32_e32 v44, v73, v12
	v_fmac_f32_e32 v40, v64, v2
	v_fma_f32 v2, v64, v3, -v41
	v_mul_f32_e32 v3, v67, v4
	v_dual_mul_f32 v41, v160, v10 :: v_dual_fmac_f32 v42, v66, v4
	v_mul_f32_e32 v4, v160, v11
	v_fmac_f32_e32 v43, v72, v12
	s_delay_alu instid0(VALU_DEP_4) | instskip(NEXT) | instid1(VALU_DEP_4)
	v_fma_f32 v3, v66, v5, -v3
	v_fma_f32 v5, v159, v11, -v41
	v_mul_f32_e32 v11, v75, v7
	s_wait_dscnt 0x4
	v_dual_mul_f32 v12, v75, v6 :: v_dual_mul_f32 v41, v166, v20
	v_fmac_f32_e32 v4, v159, v10
	v_fma_f32 v10, v72, v13, -v44
	v_dual_mul_f32 v13, v166, v21 :: v_dual_mul_f32 v44, v69, v15
	v_fmac_f32_e32 v11, v74, v6
	v_fma_f32 v6, v74, v7, -v12
	v_fma_f32 v7, v165, v21, -v41
	v_dual_mul_f32 v12, v69, v14 :: v_dual_mul_f32 v21, v162, v23
	v_fmac_f32_e32 v44, v68, v14
	v_mul_f32_e32 v41, v162, v22
	v_fmac_f32_e32 v13, v165, v20
	s_delay_alu instid0(VALU_DEP_4)
	v_fma_f32 v45, v68, v15, -v12
	v_fmac_f32_e32 v21, v161, v22
	s_wait_dscnt 0x1
	v_mul_f32_e32 v22, v81, v33
	v_mul_f32_e32 v12, v81, v32
	;; [unrolled: 1-line block ×3, first 2 shown]
	v_sub_f32_e32 v5, v2, v5
	v_dual_sub_f32 v21, v44, v21 :: v_dual_mul_f32 v20, v71, v28
	v_fmac_f32_e32 v22, v80, v32
	v_fma_f32 v32, v80, v33, -v12
	s_wait_dscnt 0x0
	v_dual_mul_f32 v33, v79, v9 :: v_dual_mul_f32 v12, v164, v36
	v_fma_f32 v15, v70, v29, -v20
	v_fma_f32 v20, v161, v23, -v41
	v_mul_f32_e32 v23, v83, v31
	v_mul_f32_e32 v29, v164, v37
	v_fmac_f32_e32 v33, v78, v8
	v_fmac_f32_e32 v14, v70, v28
	v_mul_f32_e32 v28, v83, v30
	v_fmac_f32_e32 v23, v82, v30
	v_dual_fmac_f32 v29, v163, v36 :: v_dual_mul_f32 v30, v77, v34
	v_mul_f32_e32 v36, v79, v8
	s_delay_alu instid0(VALU_DEP_4)
	v_fma_f32 v28, v82, v31, -v28
	v_mul_f32_e32 v31, v77, v35
	v_fma_f32 v37, v163, v37, -v12
	v_sub_f32_e32 v12, v16, v42
	v_sub_f32_e32 v8, v40, v4
	v_mul_f32_e32 v4, v158, v38
	v_fmac_f32_e32 v31, v76, v34
	v_fma_f32 v34, v76, v35, -v30
	v_fma_f32 v30, v78, v9, -v36
	v_sub_f32_e32 v36, v17, v3
	v_mul_f32_e32 v35, v158, v39
	v_fma_f32 v9, v16, 2.0, -v12
	v_fma_f32 v3, v40, 2.0, -v8
	v_sub_f32_e32 v40, v43, v13
	v_fma_f32 v16, v17, 2.0, -v36
	v_sub_f32_e32 v17, v18, v11
	v_fmac_f32_e32 v35, v157, v38
	v_fma_f32 v38, v157, v39, -v4
	v_fma_f32 v4, v2, 2.0, -v5
	v_sub_f32_e32 v39, v19, v6
	v_sub_f32_e32 v41, v10, v7
	v_fma_f32 v13, v18, 2.0, -v17
	v_fma_f32 v11, v43, 2.0, -v40
	v_dual_sub_f32 v7, v36, v8 :: v_dual_sub_f32 v2, v9, v3
	v_sub_f32_e32 v3, v16, v4
	v_fma_f32 v10, v10, 2.0, -v41
	s_delay_alu instid0(VALU_DEP_4) | instskip(NEXT) | instid1(VALU_DEP_4)
	v_sub_f32_e32 v8, v13, v11
	v_fma_f32 v11, v36, 2.0, -v7
	v_sub_f32_e32 v36, v24, v14
	v_add_f32_e32 v14, v17, v41
	v_sub_f32_e32 v41, v25, v15
	v_sub_f32_e32 v42, v45, v20
	v_dual_sub_f32 v15, v39, v40 :: v_dual_sub_f32 v40, v22, v29
	v_fma_f32 v18, v19, 2.0, -v39
	v_add_f32_e32 v6, v12, v5
	v_fma_f32 v5, v16, 2.0, -v3
	v_fma_f32 v20, v24, 2.0, -v36
	;; [unrolled: 1-line block ×4, first 2 shown]
	v_sub_f32_e32 v39, v26, v23
	v_sub_f32_e32 v43, v27, v28
	v_fma_f32 v24, v22, 2.0, -v40
	v_dual_add_f32 v22, v36, v42 :: v_dual_sub_f32 v23, v41, v21
	v_fma_f32 v4, v9, 2.0, -v2
	v_sub_f32_e32 v9, v18, v10
	v_fma_f32 v25, v25, 2.0, -v41
	v_fma_f32 v19, v45, 2.0, -v42
	v_fma_f32 v28, v26, 2.0, -v39
	v_sub_f32_e32 v29, v32, v37
	v_fma_f32 v37, v27, 2.0, -v43
	v_fma_f32 v26, v36, 2.0, -v22
	;; [unrolled: 1-line block ×3, first 2 shown]
	v_dual_sub_f32 v41, v0, v33 :: v_dual_sub_f32 v42, v1, v30
	v_dual_sub_f32 v35, v31, v35 :: v_dual_sub_f32 v36, v34, v38
	v_fma_f32 v10, v12, 2.0, -v6
	v_fma_f32 v12, v13, 2.0, -v8
	v_fma_f32 v13, v18, 2.0, -v9
	v_fma_f32 v18, v44, 2.0, -v21
	v_sub_f32_e32 v19, v25, v19
	v_fma_f32 v32, v32, 2.0, -v29
	v_fma_f32 v38, v0, 2.0, -v41
	;; [unrolled: 1-line block ×5, first 2 shown]
	v_add_f32_e32 v30, v39, v29
	v_dual_sub_f32 v31, v43, v40 :: v_dual_sub_f32 v18, v20, v18
	v_sub_f32_e32 v24, v28, v24
	v_fma_f32 v21, v25, 2.0, -v19
	v_dual_sub_f32 v25, v37, v32 :: v_dual_sub_f32 v32, v38, v1
	v_dual_sub_f32 v33, v44, v33 :: v_dual_add_f32 v34, v41, v36
	v_sub_f32_e32 v35, v42, v35
	v_fma_f32 v0, v39, 2.0, -v30
	v_fma_f32 v1, v43, 2.0, -v31
	;; [unrolled: 1-line block ×9, first 2 shown]
	ds_store_b64 v168, v[10:11] offset:8000
	ds_store_b64 v168, v[2:3] offset:16000
	;; [unrolled: 1-line block ×3, first 2 shown]
	ds_store_2addr_b64 v168, v[4:5], v[12:13] offset1:200
	ds_store_b64 v168, v[8:9] offset:17600
	ds_store_b64 v168, v[14:15] offset:25600
	ds_store_2addr_b64 v176, v[16:17], v[26:27] offset0:48 offset1:248
	ds_store_2addr_b64 v177, v[20:21], v[28:29] offset0:16 offset1:216
	;; [unrolled: 1-line block ×4, first 2 shown]
	ds_store_2addr_b64 v171, v[0:1], v[38:39] offset1:200
	ds_store_b64 v168, v[36:37] offset:6400
	ds_store_b64 v168, v[32:33] offset:22400
	;; [unrolled: 1-line block ×3, first 2 shown]
	global_wb scope:SCOPE_SE
	s_wait_dscnt 0x0
	s_barrier_signal -1
	s_barrier_wait -1
	global_inv scope:SCOPE_SE
	ds_load_2addr_b64 v[0:3], v168 offset1:200
	ds_load_2addr_b64 v[4:7], v177 offset0:16 offset1:216
	ds_load_2addr_b64 v[8:11], v172 offset0:32 offset1:232
	;; [unrolled: 1-line block ×3, first 2 shown]
	ds_load_2addr_b64 v[16:19], v171 offset1:200
	v_mad_co_u64_u32 v[40:41], null, s6, v108, 0
	s_delay_alu instid0(VALU_DEP_1)
	v_mad_co_u64_u32 v[41:42], null, s7, v108, v[41:42]
	v_mad_co_u64_u32 v[42:43], null, s4, v167, 0
	s_wait_dscnt 0x3
	v_dual_mul_f32 v20, v134, v1 :: v_dual_mul_f32 v25, v148, v4
	v_mul_f32_e32 v24, v148, v5
	s_wait_dscnt 0x2
	v_mul_f32_e32 v26, v138, v9
	s_wait_dscnt 0x1
	v_dual_mul_f32 v27, v146, v13 :: v_dual_fmac_f32 v20, v133, v0
	v_mul_f32_e32 v0, v134, v0
	v_fma_f32 v25, v147, v5, -v25
	v_fmac_f32_e32 v24, v147, v4
	v_fmac_f32_e32 v26, v137, v8
	v_cvt_f64_f32_e32 v[28:29], v20
	ds_load_2addr_b64 v[20:23], v175 offset0:16 offset1:216
	v_fma_f32 v0, v133, v1, -v0
	v_mul_f32_e32 v8, v138, v8
	v_cvt_f64_f32_e32 v[30:31], v25
	v_fmac_f32_e32 v27, v145, v12
	v_mul_f32_e32 v12, v146, v12
	s_wait_dscnt 0x1
	v_mul_f32_e32 v25, v140, v16
	v_cvt_f64_f32_e32 v[0:1], v0
	v_cvt_f64_f32_e32 v[4:5], v24
	v_fma_f32 v8, v137, v9, -v8
	v_mul_f32_e32 v24, v140, v17
	v_fma_f32 v12, v145, v13, -v12
	v_fma_f32 v25, v139, v17, -v25
	v_cvt_f64_f32_e32 v[34:35], v27
	v_cvt_f64_f32_e32 v[8:9], v8
	v_fmac_f32_e32 v24, v139, v16
	v_cvt_f64_f32_e32 v[12:13], v12
	v_cvt_f64_f32_e32 v[36:37], v25
	;; [unrolled: 1-line block ×3, first 2 shown]
	s_wait_dscnt 0x0
	v_mul_f32_e32 v27, v142, v20
	v_mul_f32_e32 v26, v142, v21
	v_cvt_f64_f32_e32 v[16:17], v24
	s_delay_alu instid0(VALU_DEP_3) | instskip(NEXT) | instid1(VALU_DEP_3)
	v_fma_f32 v24, v141, v21, -v27
	v_fmac_f32_e32 v26, v141, v20
	s_delay_alu instid0(VALU_DEP_2) | instskip(NEXT) | instid1(VALU_DEP_2)
	v_cvt_f64_f32_e32 v[38:39], v24
	v_cvt_f64_f32_e32 v[20:21], v26
	ds_load_2addr_b64 v[24:27], v170 offset0:32 offset1:232
	s_wait_alu 0xfffe
	v_mul_f64_e32 v[28:29], s[2:3], v[28:29]
	v_mul_f64_e32 v[44:45], s[2:3], v[30:31]
	;; [unrolled: 1-line block ×6, first 2 shown]
	s_wait_dscnt 0x0
	v_mul_f32_e32 v30, v136, v25
	v_mul_f32_e32 v31, v136, v24
	v_mul_f64_e32 v[12:13], s[2:3], v[12:13]
	v_mul_f64_e32 v[36:37], s[2:3], v[36:37]
	;; [unrolled: 1-line block ×3, first 2 shown]
	v_fmac_f32_e32 v30, v135, v24
	v_fma_f32 v25, v135, v25, -v31
	v_mov_b32_e32 v24, v43
	v_mul_f64_e32 v[16:17], s[2:3], v[16:17]
	ds_load_2addr_b64 v[32:35], v169 offset1:200
	v_cvt_f64_f32_e32 v[50:51], v30
	v_cvt_f64_f32_e32 v[52:53], v25
	v_mad_co_u64_u32 v[24:25], null, s5, v167, v[24:25]
	v_mul_f64_e32 v[38:39], s[2:3], v[38:39]
	v_mul_f64_e32 v[20:21], s[2:3], v[20:21]
	s_delay_alu instid0(VALU_DEP_3)
	v_mov_b32_e32 v43, v24
	v_lshlrev_b64_e32 v[24:25], 3, v[40:41]
	v_cvt_f32_f64_e32 v40, v[28:29]
	ds_load_2addr_b64 v[28:31], v174 offset0:48 offset1:248
	v_add_co_u32 v24, vcc_lo, s0, v24
	s_wait_alu 0xfffd
	v_add_co_ci_u32_e32 v25, vcc_lo, s1, v25, vcc_lo
	v_cvt_f32_f64_e32 v41, v[0:1]
	v_lshlrev_b64_e32 v[0:1], 3, v[42:43]
	v_cvt_f32_f64_e32 v4, v[4:5]
	v_cvt_f32_f64_e32 v5, v[44:45]
	s_mul_u64 s[0:1], s[4:5], 0xc80
	s_delay_alu instid0(VALU_DEP_3)
	v_add_co_u32 v0, vcc_lo, v24, v0
	s_wait_alu 0xfffd
	v_add_co_ci_u32_e32 v1, vcc_lo, v25, v1, vcc_lo
	v_cvt_f32_f64_e32 v25, v[8:9]
	v_cvt_f32_f64_e32 v9, v[12:13]
	;; [unrolled: 1-line block ×3, first 2 shown]
	s_wait_dscnt 0x0
	v_mul_f32_e32 v36, v144, v29
	v_cvt_f32_f64_e32 v12, v[16:17]
	v_mul_f32_e32 v37, v124, v33
	v_cvt_f32_f64_e32 v24, v[46:47]
	v_cvt_f32_f64_e32 v8, v[48:49]
	v_fmac_f32_e32 v36, v143, v28
	v_mul_f32_e32 v28, v144, v28
	v_fmac_f32_e32 v37, v123, v32
	v_cvt_f32_f64_e32 v17, v[38:39]
	v_mul_f32_e32 v38, v124, v32
	v_cvt_f64_f32_e32 v[44:45], v36
	v_fma_f32 v36, v143, v29, -v28
	v_cvt_f32_f64_e32 v16, v[20:21]
	v_cvt_f64_f32_e32 v[46:47], v37
	v_fma_f32 v38, v123, v33, -v38
	s_wait_alu 0xfffe
	v_add_co_u32 v28, vcc_lo, v0, s0
	v_cvt_f64_f32_e32 v[32:33], v36
	s_wait_alu 0xfffd
	v_add_co_ci_u32_e32 v29, vcc_lo, s1, v1, vcc_lo
	v_cvt_f64_f32_e32 v[48:49], v38
	ds_load_2addr_b64 v[36:39], v173 offset0:16 offset1:216
	v_mul_f64_e32 v[20:21], s[2:3], v[50:51]
	v_add_co_u32 v50, vcc_lo, v28, s0
	s_wait_alu 0xfffd
	v_add_co_ci_u32_e32 v51, vcc_lo, s1, v29, vcc_lo
	v_mul_f64_e32 v[42:43], s[2:3], v[52:53]
	s_delay_alu instid0(VALU_DEP_3) | instskip(SKIP_1) | instid1(VALU_DEP_3)
	v_add_co_u32 v52, vcc_lo, v50, s0
	s_wait_alu 0xfffd
	v_add_co_ci_u32_e32 v53, vcc_lo, s1, v51, vcc_lo
	global_store_b64 v[0:1], v[40:41], off
	v_add_co_u32 v54, vcc_lo, v52, s0
	s_wait_alu 0xfffd
	v_add_co_ci_u32_e32 v55, vcc_lo, s1, v53, vcc_lo
	v_mul_f32_e32 v40, v120, v11
	s_delay_alu instid0(VALU_DEP_3) | instskip(SKIP_1) | instid1(VALU_DEP_3)
	v_add_co_u32 v0, vcc_lo, v54, s0
	s_wait_alu 0xfffd
	v_add_co_ci_u32_e32 v1, vcc_lo, s1, v55, vcc_lo
	s_clause 0x3
	global_store_b64 v[28:29], v[4:5], off
	global_store_b64 v[50:51], v[24:25], off
	;; [unrolled: 1-line block ×5, first 2 shown]
	s_wait_dscnt 0x0
	v_dual_mul_f32 v55, v128, v38 :: v_dual_mul_f32 v24, v122, v37
	v_mul_f32_e32 v12, v122, v36
	v_mul_f64_e32 v[8:9], s[2:3], v[44:45]
	v_mul_f64_e32 v[16:17], s[2:3], v[46:47]
	v_fmac_f32_e32 v40, v119, v10
	v_fmac_f32_e32 v24, v121, v36
	v_fma_f32 v28, v121, v37, -v12
	v_mul_f64_e32 v[12:13], s[2:3], v[32:33]
	v_mul_f32_e32 v32, v118, v3
	v_mul_f32_e32 v33, v118, v2
	v_cvt_f64_f32_e32 v[24:25], v24
	v_cvt_f64_f32_e32 v[28:29], v28
	v_mul_f32_e32 v36, v116, v7
	v_mul_f32_e32 v37, v116, v6
	v_fmac_f32_e32 v32, v117, v2
	v_fma_f32 v33, v117, v3, -v33
	v_mul_f32_e32 v10, v120, v10
	v_fmac_f32_e32 v36, v115, v6
	v_fma_f32 v37, v115, v7, -v37
	v_cvt_f64_f32_e32 v[2:3], v32
	v_cvt_f64_f32_e32 v[6:7], v33
	v_cvt_f32_f64_e32 v5, v[42:43]
	v_cvt_f64_f32_e32 v[32:33], v36
	v_cvt_f64_f32_e32 v[36:37], v37
	v_mul_f32_e32 v42, v112, v15
	v_mul_f32_e32 v43, v112, v14
	v_mul_f32_e32 v44, v132, v19
	v_dual_mul_f32 v45, v132, v18 :: v_dual_mul_f32 v50, v110, v31
	v_mul_f32_e32 v46, v114, v23
	v_mul_f32_e32 v47, v114, v22
	v_cvt_f32_f64_e32 v4, v[20:21]
	v_mul_f64_e32 v[20:21], s[2:3], v[48:49]
	v_mul_f32_e32 v48, v126, v27
	v_mul_f32_e32 v49, v126, v26
	v_fma_f32 v10, v119, v11, -v10
	v_fmac_f32_e32 v42, v111, v14
	v_fma_f32 v43, v111, v15, -v43
	v_fmac_f32_e32 v44, v131, v18
	;; [unrolled: 2-line block ×3, first 2 shown]
	v_mul_f32_e32 v30, v110, v30
	v_mul_f32_e32 v52, v130, v35
	v_dual_mul_f32 v53, v130, v34 :: v_dual_mul_f32 v54, v128, v39
	v_fmac_f32_e32 v46, v113, v22
	v_fma_f32 v47, v113, v23, -v47
	v_fmac_f32_e32 v48, v125, v26
	v_fma_f32 v49, v125, v27, -v49
	v_cvt_f64_f32_e32 v[40:41], v40
	v_cvt_f64_f32_e32 v[10:11], v10
	;; [unrolled: 1-line block ×6, first 2 shown]
	v_fma_f32 v30, v109, v31, -v30
	v_fmac_f32_e32 v52, v129, v34
	v_fma_f32 v53, v129, v35, -v53
	v_fmac_f32_e32 v54, v127, v38
	v_fma_f32 v55, v127, v39, -v55
	v_cvt_f64_f32_e32 v[22:23], v46
	v_cvt_f64_f32_e32 v[26:27], v47
	;; [unrolled: 1-line block ×10, first 2 shown]
	v_cvt_f32_f64_e32 v8, v[8:9]
	v_mul_f64_e32 v[24:25], s[2:3], v[24:25]
	v_cvt_f32_f64_e32 v9, v[12:13]
	v_cvt_f32_f64_e32 v12, v[16:17]
	v_mul_f64_e32 v[16:17], s[2:3], v[28:29]
	v_mul_f64_e32 v[2:3], s[2:3], v[2:3]
	;; [unrolled: 1-line block ×5, first 2 shown]
	v_cvt_f32_f64_e32 v13, v[20:21]
	v_add_co_u32 v0, vcc_lo, v0, s0
	s_wait_alu 0xfffd
	v_add_co_ci_u32_e32 v1, vcc_lo, s1, v1, vcc_lo
	s_delay_alu instid0(VALU_DEP_2)
	v_add_co_u32 v20, vcc_lo, v0, s0
	v_mul_f64_e32 v[40:41], s[2:3], v[40:41]
	v_mul_f64_e32 v[10:11], s[2:3], v[10:11]
	;; [unrolled: 1-line block ×6, first 2 shown]
	s_wait_alu 0xfffd
	v_add_co_ci_u32_e32 v21, vcc_lo, s1, v1, vcc_lo
	v_add_co_u32 v36, vcc_lo, v20, s0
	global_store_b64 v[0:1], v[4:5], off
	v_mul_f64_e32 v[22:23], s[2:3], v[22:23]
	v_mul_f64_e32 v[26:27], s[2:3], v[26:27]
	;; [unrolled: 1-line block ×10, first 2 shown]
	s_wait_alu 0xfffd
	v_add_co_ci_u32_e32 v37, vcc_lo, s1, v21, vcc_lo
	v_cvt_f32_f64_e32 v0, v[24:25]
	v_add_co_u32 v56, vcc_lo, v36, s0
	v_cvt_f32_f64_e32 v1, v[16:17]
	v_cvt_f32_f64_e32 v2, v[2:3]
	v_cvt_f32_f64_e32 v3, v[6:7]
	s_wait_alu 0xfffd
	v_add_co_ci_u32_e32 v57, vcc_lo, s1, v37, vcc_lo
	v_cvt_f32_f64_e32 v6, v[28:29]
	v_cvt_f32_f64_e32 v7, v[32:33]
	s_mul_i32 s2, s5, 0xffff95c0
	s_delay_alu instid0(VALU_DEP_3)
	v_mad_co_u64_u32 v[4:5], null, 0xffff95c0, s4, v[56:57]
	s_wait_alu 0xfffe
	s_sub_co_i32 s2, s2, s4
	global_store_b64 v[20:21], v[8:9], off
	global_store_b64 v[36:37], v[12:13], off
	v_cvt_f32_f64_e32 v12, v[40:41]
	v_cvt_f32_f64_e32 v13, v[10:11]
	;; [unrolled: 1-line block ×3, first 2 shown]
	s_wait_alu 0xfffe
	v_add_nc_u32_e32 v5, s2, v5
	v_add_co_u32 v8, vcc_lo, v4, s0
	v_cvt_f32_f64_e32 v11, v[18:19]
	v_cvt_f32_f64_e32 v16, v[42:43]
	s_wait_alu 0xfffd
	v_add_co_ci_u32_e32 v9, vcc_lo, s1, v5, vcc_lo
	v_cvt_f32_f64_e32 v17, v[44:45]
	v_add_co_u32 v14, vcc_lo, v8, s0
	v_cvt_f32_f64_e32 v18, v[22:23]
	v_cvt_f32_f64_e32 v19, v[26:27]
	;; [unrolled: 1-line block ×4, first 2 shown]
	s_wait_alu 0xfffd
	v_add_co_ci_u32_e32 v15, vcc_lo, s1, v9, vcc_lo
	v_cvt_f32_f64_e32 v22, v[50:51]
	v_cvt_f32_f64_e32 v23, v[30:31]
	;; [unrolled: 1-line block ×6, first 2 shown]
	v_add_co_u32 v28, vcc_lo, v14, s0
	s_wait_alu 0xfffd
	v_add_co_ci_u32_e32 v29, vcc_lo, s1, v15, vcc_lo
	global_store_b64 v[56:57], v[0:1], off
	v_add_co_u32 v0, vcc_lo, v28, s0
	s_wait_alu 0xfffd
	v_add_co_ci_u32_e32 v1, vcc_lo, s1, v29, vcc_lo
	global_store_b64 v[4:5], v[2:3], off
	;; [unrolled: 4-line block ×7, first 2 shown]
	global_store_b64 v[4:5], v[20:21], off
	global_store_b64 v[6:7], v[22:23], off
	;; [unrolled: 1-line block ×4, first 2 shown]
.LBB0_2:
	s_nop 0
	s_sendmsg sendmsg(MSG_DEALLOC_VGPRS)
	s_endpgm
	.section	.rodata,"a",@progbits
	.p2align	6, 0x0
	.amdhsa_kernel bluestein_single_fwd_len4000_dim1_sp_op_CI_CI
		.amdhsa_group_segment_fixed_size 32000
		.amdhsa_private_segment_fixed_size 0
		.amdhsa_kernarg_size 104
		.amdhsa_user_sgpr_count 2
		.amdhsa_user_sgpr_dispatch_ptr 0
		.amdhsa_user_sgpr_queue_ptr 0
		.amdhsa_user_sgpr_kernarg_segment_ptr 1
		.amdhsa_user_sgpr_dispatch_id 0
		.amdhsa_user_sgpr_private_segment_size 0
		.amdhsa_wavefront_size32 1
		.amdhsa_uses_dynamic_stack 0
		.amdhsa_enable_private_segment 0
		.amdhsa_system_sgpr_workgroup_id_x 1
		.amdhsa_system_sgpr_workgroup_id_y 0
		.amdhsa_system_sgpr_workgroup_id_z 0
		.amdhsa_system_sgpr_workgroup_info 0
		.amdhsa_system_vgpr_workitem_id 0
		.amdhsa_next_free_vgpr 251
		.amdhsa_next_free_sgpr 20
		.amdhsa_reserve_vcc 1
		.amdhsa_float_round_mode_32 0
		.amdhsa_float_round_mode_16_64 0
		.amdhsa_float_denorm_mode_32 3
		.amdhsa_float_denorm_mode_16_64 3
		.amdhsa_fp16_overflow 0
		.amdhsa_workgroup_processor_mode 1
		.amdhsa_memory_ordered 1
		.amdhsa_forward_progress 0
		.amdhsa_round_robin_scheduling 0
		.amdhsa_exception_fp_ieee_invalid_op 0
		.amdhsa_exception_fp_denorm_src 0
		.amdhsa_exception_fp_ieee_div_zero 0
		.amdhsa_exception_fp_ieee_overflow 0
		.amdhsa_exception_fp_ieee_underflow 0
		.amdhsa_exception_fp_ieee_inexact 0
		.amdhsa_exception_int_div_zero 0
	.end_amdhsa_kernel
	.text
.Lfunc_end0:
	.size	bluestein_single_fwd_len4000_dim1_sp_op_CI_CI, .Lfunc_end0-bluestein_single_fwd_len4000_dim1_sp_op_CI_CI
                                        ; -- End function
	.section	.AMDGPU.csdata,"",@progbits
; Kernel info:
; codeLenInByte = 21328
; NumSgprs: 22
; NumVgprs: 251
; ScratchSize: 0
; MemoryBound: 0
; FloatMode: 240
; IeeeMode: 1
; LDSByteSize: 32000 bytes/workgroup (compile time only)
; SGPRBlocks: 2
; VGPRBlocks: 31
; NumSGPRsForWavesPerEU: 22
; NumVGPRsForWavesPerEU: 251
; Occupancy: 5
; WaveLimiterHint : 1
; COMPUTE_PGM_RSRC2:SCRATCH_EN: 0
; COMPUTE_PGM_RSRC2:USER_SGPR: 2
; COMPUTE_PGM_RSRC2:TRAP_HANDLER: 0
; COMPUTE_PGM_RSRC2:TGID_X_EN: 1
; COMPUTE_PGM_RSRC2:TGID_Y_EN: 0
; COMPUTE_PGM_RSRC2:TGID_Z_EN: 0
; COMPUTE_PGM_RSRC2:TIDIG_COMP_CNT: 0
	.text
	.p2alignl 7, 3214868480
	.fill 96, 4, 3214868480
	.type	__hip_cuid_20184df63c5c3fbf,@object ; @__hip_cuid_20184df63c5c3fbf
	.section	.bss,"aw",@nobits
	.globl	__hip_cuid_20184df63c5c3fbf
__hip_cuid_20184df63c5c3fbf:
	.byte	0                               ; 0x0
	.size	__hip_cuid_20184df63c5c3fbf, 1

	.ident	"AMD clang version 19.0.0git (https://github.com/RadeonOpenCompute/llvm-project roc-6.4.0 25133 c7fe45cf4b819c5991fe208aaa96edf142730f1d)"
	.section	".note.GNU-stack","",@progbits
	.addrsig
	.addrsig_sym __hip_cuid_20184df63c5c3fbf
	.amdgpu_metadata
---
amdhsa.kernels:
  - .args:
      - .actual_access:  read_only
        .address_space:  global
        .offset:         0
        .size:           8
        .value_kind:     global_buffer
      - .actual_access:  read_only
        .address_space:  global
        .offset:         8
        .size:           8
        .value_kind:     global_buffer
      - .actual_access:  read_only
        .address_space:  global
        .offset:         16
        .size:           8
        .value_kind:     global_buffer
      - .actual_access:  read_only
        .address_space:  global
        .offset:         24
        .size:           8
        .value_kind:     global_buffer
      - .actual_access:  read_only
        .address_space:  global
        .offset:         32
        .size:           8
        .value_kind:     global_buffer
      - .offset:         40
        .size:           8
        .value_kind:     by_value
      - .address_space:  global
        .offset:         48
        .size:           8
        .value_kind:     global_buffer
      - .address_space:  global
        .offset:         56
        .size:           8
        .value_kind:     global_buffer
      - .address_space:  global
        .offset:         64
        .size:           8
        .value_kind:     global_buffer
      - .address_space:  global
        .offset:         72
        .size:           8
        .value_kind:     global_buffer
      - .offset:         80
        .size:           4
        .value_kind:     by_value
      - .address_space:  global
        .offset:         88
        .size:           8
        .value_kind:     global_buffer
      - .address_space:  global
        .offset:         96
        .size:           8
        .value_kind:     global_buffer
    .group_segment_fixed_size: 32000
    .kernarg_segment_align: 8
    .kernarg_segment_size: 104
    .language:       OpenCL C
    .language_version:
      - 2
      - 0
    .max_flat_workgroup_size: 200
    .name:           bluestein_single_fwd_len4000_dim1_sp_op_CI_CI
    .private_segment_fixed_size: 0
    .sgpr_count:     22
    .sgpr_spill_count: 0
    .symbol:         bluestein_single_fwd_len4000_dim1_sp_op_CI_CI.kd
    .uniform_work_group_size: 1
    .uses_dynamic_stack: false
    .vgpr_count:     251
    .vgpr_spill_count: 0
    .wavefront_size: 32
    .workgroup_processor_mode: 1
amdhsa.target:   amdgcn-amd-amdhsa--gfx1201
amdhsa.version:
  - 1
  - 2
...

	.end_amdgpu_metadata
